;; amdgpu-corpus repo=ROCm/rocFFT kind=compiled arch=gfx906 opt=O3
	.text
	.amdgcn_target "amdgcn-amd-amdhsa--gfx906"
	.amdhsa_code_object_version 6
	.protected	fft_rtc_back_len2016_factors_2_2_2_2_2_3_3_7_wgs_224_tpt_112_halfLds_dp_ip_CI_unitstride_sbrr_dirReg ; -- Begin function fft_rtc_back_len2016_factors_2_2_2_2_2_3_3_7_wgs_224_tpt_112_halfLds_dp_ip_CI_unitstride_sbrr_dirReg
	.globl	fft_rtc_back_len2016_factors_2_2_2_2_2_3_3_7_wgs_224_tpt_112_halfLds_dp_ip_CI_unitstride_sbrr_dirReg
	.p2align	8
	.type	fft_rtc_back_len2016_factors_2_2_2_2_2_3_3_7_wgs_224_tpt_112_halfLds_dp_ip_CI_unitstride_sbrr_dirReg,@function
fft_rtc_back_len2016_factors_2_2_2_2_2_3_3_7_wgs_224_tpt_112_halfLds_dp_ip_CI_unitstride_sbrr_dirReg: ; @fft_rtc_back_len2016_factors_2_2_2_2_2_3_3_7_wgs_224_tpt_112_halfLds_dp_ip_CI_unitstride_sbrr_dirReg
; %bb.0:
	s_load_dwordx2 s[12:13], s[4:5], 0x50
	s_load_dwordx4 s[8:11], s[4:5], 0x0
	s_load_dwordx2 s[2:3], s[4:5], 0x18
	v_mul_u32_u24_e32 v1, 0x24a, v0
	v_lshrrev_b32_e32 v78, 16, v1
	v_mov_b32_e32 v3, 0
	s_waitcnt lgkmcnt(0)
	v_cmp_lt_u64_e64 s[0:1], s[10:11], 2
	v_mov_b32_e32 v1, 0
	v_lshl_add_u32 v5, s6, 1, v78
	v_mov_b32_e32 v6, v3
	s_and_b64 vcc, exec, s[0:1]
	v_mov_b32_e32 v2, 0
	s_cbranch_vccnz .LBB0_8
; %bb.1:
	s_load_dwordx2 s[0:1], s[4:5], 0x10
	s_add_u32 s6, s2, 8
	s_addc_u32 s7, s3, 0
	v_mov_b32_e32 v1, 0
	v_mov_b32_e32 v2, 0
	s_waitcnt lgkmcnt(0)
	s_add_u32 s14, s0, 8
	s_addc_u32 s15, s1, 0
	s_mov_b64 s[16:17], 1
.LBB0_2:                                ; =>This Inner Loop Header: Depth=1
	s_load_dwordx2 s[18:19], s[14:15], 0x0
                                        ; implicit-def: $vgpr7_vgpr8
	s_waitcnt lgkmcnt(0)
	v_or_b32_e32 v4, s19, v6
	v_cmp_ne_u64_e32 vcc, 0, v[3:4]
	s_and_saveexec_b64 s[0:1], vcc
	s_xor_b64 s[20:21], exec, s[0:1]
	s_cbranch_execz .LBB0_4
; %bb.3:                                ;   in Loop: Header=BB0_2 Depth=1
	v_cvt_f32_u32_e32 v4, s18
	v_cvt_f32_u32_e32 v7, s19
	s_sub_u32 s0, 0, s18
	s_subb_u32 s1, 0, s19
	v_mac_f32_e32 v4, 0x4f800000, v7
	v_rcp_f32_e32 v4, v4
	v_mul_f32_e32 v4, 0x5f7ffffc, v4
	v_mul_f32_e32 v7, 0x2f800000, v4
	v_trunc_f32_e32 v7, v7
	v_mac_f32_e32 v4, 0xcf800000, v7
	v_cvt_u32_f32_e32 v7, v7
	v_cvt_u32_f32_e32 v4, v4
	v_mul_lo_u32 v8, s0, v7
	v_mul_hi_u32 v9, s0, v4
	v_mul_lo_u32 v11, s1, v4
	v_mul_lo_u32 v10, s0, v4
	v_add_u32_e32 v8, v9, v8
	v_add_u32_e32 v8, v8, v11
	v_mul_hi_u32 v9, v4, v10
	v_mul_lo_u32 v11, v4, v8
	v_mul_hi_u32 v13, v4, v8
	v_mul_hi_u32 v12, v7, v10
	v_mul_lo_u32 v10, v7, v10
	v_mul_hi_u32 v14, v7, v8
	v_add_co_u32_e32 v9, vcc, v9, v11
	v_addc_co_u32_e32 v11, vcc, 0, v13, vcc
	v_mul_lo_u32 v8, v7, v8
	v_add_co_u32_e32 v9, vcc, v9, v10
	v_addc_co_u32_e32 v9, vcc, v11, v12, vcc
	v_addc_co_u32_e32 v10, vcc, 0, v14, vcc
	v_add_co_u32_e32 v8, vcc, v9, v8
	v_addc_co_u32_e32 v9, vcc, 0, v10, vcc
	v_add_co_u32_e32 v4, vcc, v4, v8
	v_addc_co_u32_e32 v7, vcc, v7, v9, vcc
	v_mul_lo_u32 v8, s0, v7
	v_mul_hi_u32 v9, s0, v4
	v_mul_lo_u32 v10, s1, v4
	v_mul_lo_u32 v11, s0, v4
	v_add_u32_e32 v8, v9, v8
	v_add_u32_e32 v8, v8, v10
	v_mul_lo_u32 v12, v4, v8
	v_mul_hi_u32 v13, v4, v11
	v_mul_hi_u32 v14, v4, v8
	;; [unrolled: 1-line block ×3, first 2 shown]
	v_mul_lo_u32 v11, v7, v11
	v_mul_hi_u32 v9, v7, v8
	v_add_co_u32_e32 v12, vcc, v13, v12
	v_addc_co_u32_e32 v13, vcc, 0, v14, vcc
	v_mul_lo_u32 v8, v7, v8
	v_add_co_u32_e32 v11, vcc, v12, v11
	v_addc_co_u32_e32 v10, vcc, v13, v10, vcc
	v_addc_co_u32_e32 v9, vcc, 0, v9, vcc
	v_add_co_u32_e32 v8, vcc, v10, v8
	v_addc_co_u32_e32 v9, vcc, 0, v9, vcc
	v_add_co_u32_e32 v4, vcc, v4, v8
	v_addc_co_u32_e32 v9, vcc, v7, v9, vcc
	v_mad_u64_u32 v[7:8], s[0:1], v5, v9, 0
	v_mul_hi_u32 v10, v5, v4
	v_add_co_u32_e32 v11, vcc, v10, v7
	v_addc_co_u32_e32 v12, vcc, 0, v8, vcc
	v_mad_u64_u32 v[7:8], s[0:1], v6, v4, 0
	v_mad_u64_u32 v[9:10], s[0:1], v6, v9, 0
	v_add_co_u32_e32 v4, vcc, v11, v7
	v_addc_co_u32_e32 v4, vcc, v12, v8, vcc
	v_addc_co_u32_e32 v7, vcc, 0, v10, vcc
	v_add_co_u32_e32 v4, vcc, v4, v9
	v_addc_co_u32_e32 v9, vcc, 0, v7, vcc
	v_mul_lo_u32 v10, s19, v4
	v_mul_lo_u32 v11, s18, v9
	v_mad_u64_u32 v[7:8], s[0:1], s18, v4, 0
	v_add3_u32 v8, v8, v11, v10
	v_sub_u32_e32 v10, v6, v8
	v_mov_b32_e32 v11, s19
	v_sub_co_u32_e32 v7, vcc, v5, v7
	v_subb_co_u32_e64 v10, s[0:1], v10, v11, vcc
	v_subrev_co_u32_e64 v11, s[0:1], s18, v7
	v_subbrev_co_u32_e64 v10, s[0:1], 0, v10, s[0:1]
	v_cmp_le_u32_e64 s[0:1], s19, v10
	v_cndmask_b32_e64 v12, 0, -1, s[0:1]
	v_cmp_le_u32_e64 s[0:1], s18, v11
	v_cndmask_b32_e64 v11, 0, -1, s[0:1]
	v_cmp_eq_u32_e64 s[0:1], s19, v10
	v_cndmask_b32_e64 v10, v12, v11, s[0:1]
	v_add_co_u32_e64 v11, s[0:1], 2, v4
	v_addc_co_u32_e64 v12, s[0:1], 0, v9, s[0:1]
	v_add_co_u32_e64 v13, s[0:1], 1, v4
	v_addc_co_u32_e64 v14, s[0:1], 0, v9, s[0:1]
	v_subb_co_u32_e32 v8, vcc, v6, v8, vcc
	v_cmp_ne_u32_e64 s[0:1], 0, v10
	v_cmp_le_u32_e32 vcc, s19, v8
	v_cndmask_b32_e64 v10, v14, v12, s[0:1]
	v_cndmask_b32_e64 v12, 0, -1, vcc
	v_cmp_le_u32_e32 vcc, s18, v7
	v_cndmask_b32_e64 v7, 0, -1, vcc
	v_cmp_eq_u32_e32 vcc, s19, v8
	v_cndmask_b32_e32 v7, v12, v7, vcc
	v_cmp_ne_u32_e32 vcc, 0, v7
	v_cndmask_b32_e64 v7, v13, v11, s[0:1]
	v_cndmask_b32_e32 v8, v9, v10, vcc
	v_cndmask_b32_e32 v7, v4, v7, vcc
.LBB0_4:                                ;   in Loop: Header=BB0_2 Depth=1
	s_andn2_saveexec_b64 s[0:1], s[20:21]
	s_cbranch_execz .LBB0_6
; %bb.5:                                ;   in Loop: Header=BB0_2 Depth=1
	v_cvt_f32_u32_e32 v4, s18
	s_sub_i32 s20, 0, s18
	v_rcp_iflag_f32_e32 v4, v4
	v_mul_f32_e32 v4, 0x4f7ffffe, v4
	v_cvt_u32_f32_e32 v4, v4
	v_mul_lo_u32 v7, s20, v4
	v_mul_hi_u32 v7, v4, v7
	v_add_u32_e32 v4, v4, v7
	v_mul_hi_u32 v4, v5, v4
	v_mul_lo_u32 v7, v4, s18
	v_add_u32_e32 v8, 1, v4
	v_sub_u32_e32 v7, v5, v7
	v_subrev_u32_e32 v9, s18, v7
	v_cmp_le_u32_e32 vcc, s18, v7
	v_cndmask_b32_e32 v7, v7, v9, vcc
	v_cndmask_b32_e32 v4, v4, v8, vcc
	v_add_u32_e32 v8, 1, v4
	v_cmp_le_u32_e32 vcc, s18, v7
	v_cndmask_b32_e32 v7, v4, v8, vcc
	v_mov_b32_e32 v8, v3
.LBB0_6:                                ;   in Loop: Header=BB0_2 Depth=1
	s_or_b64 exec, exec, s[0:1]
	v_mul_lo_u32 v4, v8, s18
	v_mul_lo_u32 v11, v7, s19
	v_mad_u64_u32 v[9:10], s[0:1], v7, s18, 0
	s_load_dwordx2 s[0:1], s[6:7], 0x0
	s_add_u32 s16, s16, 1
	v_add3_u32 v4, v10, v11, v4
	v_sub_co_u32_e32 v5, vcc, v5, v9
	v_subb_co_u32_e32 v4, vcc, v6, v4, vcc
	s_waitcnt lgkmcnt(0)
	v_mul_lo_u32 v4, s0, v4
	v_mul_lo_u32 v6, s1, v5
	v_mad_u64_u32 v[1:2], s[0:1], s0, v5, v[1:2]
	s_addc_u32 s17, s17, 0
	s_add_u32 s6, s6, 8
	v_add3_u32 v2, v6, v2, v4
	v_mov_b32_e32 v4, s10
	v_mov_b32_e32 v5, s11
	s_addc_u32 s7, s7, 0
	v_cmp_ge_u64_e32 vcc, s[16:17], v[4:5]
	s_add_u32 s14, s14, 8
	s_addc_u32 s15, s15, 0
	s_cbranch_vccnz .LBB0_9
; %bb.7:                                ;   in Loop: Header=BB0_2 Depth=1
	v_mov_b32_e32 v5, v7
	v_mov_b32_e32 v6, v8
	s_branch .LBB0_2
.LBB0_8:
	v_mov_b32_e32 v8, v6
	v_mov_b32_e32 v7, v5
.LBB0_9:
	s_lshl_b64 s[0:1], s[10:11], 3
	s_add_u32 s0, s2, s0
	s_addc_u32 s1, s3, s1
	s_load_dwordx2 s[2:3], s[0:1], 0x0
	s_load_dwordx2 s[6:7], s[4:5], 0x20
                                        ; implicit-def: $vgpr76
	s_waitcnt lgkmcnt(0)
	v_mad_u64_u32 v[1:2], s[0:1], s2, v7, v[1:2]
	s_mov_b32 s0, 0x2492493
	v_mul_lo_u32 v3, s2, v8
	v_mul_lo_u32 v4, s3, v7
	v_mul_hi_u32 v5, v0, s0
	v_cmp_gt_u64_e64 s[0:1], s[6:7], v[7:8]
	v_cmp_le_u64_e32 vcc, s[6:7], v[7:8]
	v_add3_u32 v2, v4, v2, v3
	v_mul_u32_u24_e32 v3, 0x70, v5
	v_sub_u32_e32 v72, v0, v3
	s_and_saveexec_b64 s[2:3], vcc
	s_xor_b64 s[2:3], exec, s[2:3]
; %bb.10:
	v_or_b32_e32 v76, 0x380, v72
; %bb.11:
	s_or_saveexec_b64 s[2:3], s[2:3]
	v_lshlrev_b64 v[74:75], 4, v[1:2]
                                        ; implicit-def: $vgpr38_vgpr39
                                        ; implicit-def: $vgpr26_vgpr27
                                        ; implicit-def: $vgpr34_vgpr35
                                        ; implicit-def: $vgpr22_vgpr23
                                        ; implicit-def: $vgpr50_vgpr51
                                        ; implicit-def: $vgpr30_vgpr31
                                        ; implicit-def: $vgpr58_vgpr59
                                        ; implicit-def: $vgpr18_vgpr19
                                        ; implicit-def: $vgpr54_vgpr55
                                        ; implicit-def: $vgpr6_vgpr7
                                        ; implicit-def: $vgpr14_vgpr15
                                        ; implicit-def: $vgpr2_vgpr3
                                        ; implicit-def: $vgpr10_vgpr11
                                        ; implicit-def: $vgpr46_vgpr47
                                        ; implicit-def: $vgpr62_vgpr63
                                        ; implicit-def: $vgpr42_vgpr43
                                        ; implicit-def: $vgpr70_vgpr71
                                        ; implicit-def: $vgpr66_vgpr67
	s_xor_b64 exec, exec, s[2:3]
	s_cbranch_execz .LBB0_13
; %bb.12:
	v_mov_b32_e32 v73, 0
	v_mov_b32_e32 v0, s13
	v_add_co_u32_e32 v18, vcc, s12, v74
	v_addc_co_u32_e32 v19, vcc, v0, v75, vcc
	v_lshlrev_b64 v[0:1], 4, v[72:73]
	s_movk_i32 s4, 0x3000
	v_add_co_u32_e32 v79, vcc, v18, v0
	v_addc_co_u32_e32 v80, vcc, v19, v1, vcc
	v_add_co_u32_e32 v81, vcc, s4, v79
	v_addc_co_u32_e32 v82, vcc, 0, v80, vcc
	s_movk_i32 s4, 0x4000
	v_add_co_u32_e32 v83, vcc, s4, v79
	v_addc_co_u32_e32 v84, vcc, 0, v80, vcc
	s_movk_i32 s4, 0x1000
	;; [unrolled: 3-line block ×4, first 2 shown]
	v_add_co_u32_e32 v87, vcc, s4, v79
	global_load_dwordx4 v[8:11], v[83:84], off offset:3328
	global_load_dwordx4 v[0:3], v[16:17], off offset:1280
	;; [unrolled: 1-line block ×4, first 2 shown]
	v_addc_co_u32_e32 v88, vcc, 0, v80, vcc
	s_movk_i32 s4, 0x6000
	v_or_b32_e32 v16, 0x700, v72
	v_mov_b32_e32 v17, v73
	v_add_co_u32_e32 v89, vcc, s4, v79
	v_lshlrev_b64 v[16:17], 4, v[16:17]
	v_addc_co_u32_e32 v90, vcc, 0, v80, vcc
	v_add_co_u32_e32 v91, vcc, v18, v16
	v_or_b32_e32 v76, 0x380, v72
	v_mov_b32_e32 v77, v73
	v_addc_co_u32_e32 v92, vcc, v19, v17, vcc
	v_lshlrev_b64 v[16:17], 4, v[76:77]
	v_add_co_u32_e32 v93, vcc, v18, v16
	v_addc_co_u32_e32 v94, vcc, v19, v17, vcc
	v_add_co_u32_e32 v95, vcc, 0x7000, v79
	v_addc_co_u32_e32 v96, vcc, 0, v80, vcc
	global_load_dwordx4 v[52:55], v[85:86], off offset:2816
	global_load_dwordx4 v[16:19], v[87:88], off offset:768
	global_load_dwordx4 v[64:67], v[79:80], off
	global_load_dwordx4 v[40:43], v[79:80], off offset:1792
	global_load_dwordx4 v[60:63], v[83:84], off offset:1536
	;; [unrolled: 1-line block ×8, first 2 shown]
	global_load_dwordx4 v[32:35], v[91:92], off
	global_load_dwordx4 v[24:27], v[93:94], off
	global_load_dwordx4 v[36:39], v[95:96], off offset:1792
.LBB0_13:
	s_or_b64 exec, exec, s[2:3]
	s_waitcnt vmcnt(8)
	v_add_f64 v[79:80], v[64:65], -v[68:69]
	v_add_f64 v[83:84], v[40:41], -v[60:61]
	v_and_b32_e32 v60, 1, v78
	s_waitcnt vmcnt(7)
	v_add_f64 v[87:88], v[44:45], -v[8:9]
	v_add_f64 v[91:92], v[0:1], -v[12:13]
	v_mov_b32_e32 v61, 0x3f00
	v_cmp_eq_u32_e32 vcc, 1, v60
	v_cndmask_b32_e32 v8, 0, v61, vcc
	v_fma_f64 v[77:78], v[64:65], 2.0, -v[79:80]
	v_add_u32_e32 v60, 0, v8
	v_lshl_add_u32 v61, v72, 4, v60
	v_fma_f64 v[81:82], v[40:41], 2.0, -v[83:84]
	v_fma_f64 v[85:86], v[44:45], 2.0, -v[87:88]
	;; [unrolled: 1-line block ×3, first 2 shown]
	v_add_u32_e32 v73, 0x70, v72
	v_add_u32_e32 v106, 0xe0, v72
	ds_write_b128 v61, v[77:80]
	v_add_f64 v[79:80], v[4:5], -v[52:53]
	v_add_u32_e32 v41, 0x150, v72
	s_waitcnt vmcnt(0)
	v_add_f64 v[95:96], v[24:25], -v[36:37]
	v_lshl_add_u32 v105, v73, 4, v60
	v_lshl_add_u32 v0, v106, 4, v60
	;; [unrolled: 1-line block ×3, first 2 shown]
	v_add_f64 v[68:69], v[66:67], -v[70:71]
	ds_write_b128 v105, v[81:84]
	ds_write_b128 v0, v[85:88]
	v_add_f64 v[83:84], v[16:17], -v[56:57]
	v_fma_f64 v[77:78], v[4:5], 2.0, -v[79:80]
	v_add_f64 v[87:88], v[28:29], -v[48:49]
	ds_write_b128 v1, v[89:92]
	v_add_f64 v[91:92], v[20:21], -v[32:33]
	v_lshlrev_b32_e32 v4, 3, v72
	v_add_f64 v[36:37], v[42:43], -v[62:63]
	v_lshl_add_u32 v119, v76, 4, v60
	v_add_u32_e32 v108, v60, v4
	v_add3_u32 v107, 0, v4, v8
	v_lshlrev_b32_e32 v4, 3, v76
	v_add_f64 v[44:45], v[46:47], -v[10:11]
	v_sub_u32_e32 v12, v119, v4
	v_add_f64 v[4:5], v[2:3], -v[14:15]
	v_add_f64 v[48:49], v[6:7], -v[54:55]
	;; [unrolled: 1-line block ×4, first 2 shown]
	v_fma_f64 v[93:94], v[24:25], 2.0, -v[95:96]
	v_add_f64 v[24:25], v[22:23], -v[34:35]
	v_add_f64 v[56:57], v[26:27], -v[38:39]
	v_fma_f64 v[66:67], v[66:67], 2.0, -v[68:69]
	v_fma_f64 v[81:82], v[16:17], 2.0, -v[83:84]
	;; [unrolled: 1-line block ×10, first 2 shown]
	v_add_u32_e32 v40, 0x1c0, v72
	v_add_u32_e32 v28, 0x230, v72
	;; [unrolled: 1-line block ×4, first 2 shown]
	v_fma_f64 v[22:23], v[22:23], 2.0, -v[24:25]
	v_lshl_add_u32 v114, v40, 4, v60
	v_lshl_add_u32 v29, v28, 4, v60
	;; [unrolled: 1-line block ×4, first 2 shown]
	v_fma_f64 v[54:55], v[26:27], 2.0, -v[56:57]
	v_and_b32_e32 v39, 1, v72
	ds_write_b128 v114, v[77:80]
	ds_write_b128 v29, v[81:84]
	;; [unrolled: 1-line block ×5, first 2 shown]
	s_waitcnt lgkmcnt(0)
	s_barrier
	v_add_u32_e32 v20, 0x1800, v107
	v_add_u32_e32 v17, 0x2000, v107
	;; [unrolled: 1-line block ×7, first 2 shown]
	ds_read_b64 v[64:65], v108
	ds_read_b64 v[70:71], v12
	ds_read2_b64 v[77:80], v20 offset0:16 offset1:240
	ds_read2_b64 v[81:84], v107 offset0:112 offset1:224
	;; [unrolled: 1-line block ×7, first 2 shown]
	ds_read2_b64 v[110:113], v16 offset1:112
	s_waitcnt lgkmcnt(0)
	s_barrier
	ds_write_b128 v61, v[66:69]
	ds_write_b128 v105, v[34:37]
	;; [unrolled: 1-line block ×9, first 2 shown]
	v_lshlrev_b32_e32 v0, 4, v39
	s_waitcnt lgkmcnt(0)
	s_barrier
	global_load_dwordx4 v[0:3], v0, s[8:9]
	ds_read2_b64 v[4:7], v17 offset0:96 offset1:208
	ds_read2_b64 v[33:36], v20 offset0:16 offset1:240
	;; [unrolled: 1-line block ×4, first 2 shown]
	s_movk_i32 s2, 0xfc
	s_movk_i32 s3, 0x5fc
	s_mov_b32 s4, 0xe8584caa
	s_mov_b32 s5, 0xbfebb67a
	;; [unrolled: 1-line block ×4, first 2 shown]
	s_waitcnt vmcnt(0)
	v_mul_f64 v[18:19], v[85:86], v[2:3]
	s_waitcnt lgkmcnt(3)
	v_mul_f64 v[10:11], v[4:5], v[2:3]
	v_mul_f64 v[26:27], v[87:88], v[2:3]
	s_waitcnt lgkmcnt(2)
	v_mul_f64 v[50:51], v[35:36], v[2:3]
	s_waitcnt lgkmcnt(1)
	v_mul_f64 v[37:38], v[22:23], v[2:3]
	v_mul_f64 v[44:45], v[95:96], v[2:3]
	s_waitcnt lgkmcnt(0)
	v_mul_f64 v[46:47], v[29:30], v[2:3]
	v_mul_f64 v[48:49], v[31:32], v[2:3]
	v_fma_f64 v[18:19], v[4:5], v[0:1], -v[18:19]
	v_mul_f64 v[4:5], v[93:94], v[2:3]
	v_mul_f64 v[14:15], v[6:7], v[2:3]
	v_fma_f64 v[26:27], v[6:7], v[0:1], -v[26:27]
	v_fma_f64 v[10:11], v[85:86], v[0:1], v[10:11]
	v_mul_f64 v[42:43], v[24:25], v[2:3]
	v_fma_f64 v[52:53], v[93:94], v[0:1], v[37:38]
	v_fma_f64 v[85:86], v[24:25], v[0:1], -v[44:45]
	v_fma_f64 v[44:45], v[101:102], v[0:1], v[46:47]
	v_fma_f64 v[58:59], v[22:23], v[0:1], -v[4:5]
	ds_read2_b64 v[4:7], v16 offset1:112
	v_fma_f64 v[22:23], v[79:80], v[0:1], v[50:51]
	v_fma_f64 v[46:47], v[103:104], v[0:1], v[48:49]
	v_mul_f64 v[24:25], v[101:102], v[2:3]
	v_mul_f64 v[37:38], v[103:104], v[2:3]
	s_waitcnt lgkmcnt(0)
	v_mul_f64 v[48:49], v[4:5], v[2:3]
	v_mul_f64 v[50:51], v[6:7], v[2:3]
	;; [unrolled: 1-line block ×5, first 2 shown]
	v_fma_f64 v[14:15], v[87:88], v[0:1], v[14:15]
	v_add_f64 v[61:62], v[64:65], -v[22:23]
	v_fma_f64 v[42:43], v[95:96], v[0:1], v[42:43]
	v_fma_f64 v[87:88], v[29:30], v[0:1], -v[24:25]
	v_fma_f64 v[93:94], v[31:32], v[0:1], -v[37:38]
	;; [unrolled: 1-line block ×3, first 2 shown]
	v_fma_f64 v[48:49], v[110:111], v[0:1], v[48:49]
	v_fma_f64 v[54:55], v[35:36], v[0:1], -v[2:3]
	v_add_f64 v[3:4], v[81:82], -v[10:11]
	v_fma_f64 v[50:51], v[112:113], v[0:1], v[50:51]
	v_fma_f64 v[101:102], v[6:7], v[0:1], -v[56:57]
	v_lshlrev_b32_e32 v0, 1, v72
	v_and_or_b32 v5, v0, s2, v39
	v_lshl_add_u32 v105, v5, 3, v60
	v_add_f64 v[5:6], v[83:84], -v[14:15]
	v_fma_f64 v[1:2], v[64:65], 2.0, -v[61:62]
	v_fma_f64 v[10:11], v[81:82], 2.0, -v[3:4]
	v_add_f64 v[14:15], v[89:90], -v[52:53]
	ds_read_b64 v[56:57], v108
	ds_read_b64 v[103:104], v12
	ds_read2_b64 v[22:25], v107 offset0:112 offset1:224
	ds_read2_b64 v[29:32], v9 offset0:80 offset1:192
	ds_read2_b64 v[35:38], v13 offset0:48 offset1:160
	s_waitcnt lgkmcnt(0)
	s_barrier
	v_fma_f64 v[52:53], v[83:84], 2.0, -v[5:6]
	ds_write2_b64 v105, v[1:2], v[61:62] offset1:2
	s_movk_i32 s2, 0x1fc
	v_lshlrev_b32_e32 v1, 1, v73
	v_and_or_b32 v2, v1, s2, v39
	v_lshl_add_u32 v110, v2, 3, v60
	ds_write2_b64 v110, v[10:11], v[3:4] offset1:2
	s_movk_i32 s2, 0x3fc
	v_lshlrev_b32_e32 v2, 1, v106
	v_add_f64 v[10:11], v[91:92], -v[42:43]
	v_and_or_b32 v3, v2, s2, v39
	v_lshl_add_u32 v111, v3, 3, v60
	v_fma_f64 v[42:43], v[89:90], 2.0, -v[14:15]
	ds_write2_b64 v111, v[52:53], v[5:6] offset1:2
	v_add_f64 v[6:7], v[97:98], -v[44:45]
	v_lshlrev_b32_e32 v3, 1, v41
	v_and_or_b32 v4, v3, s2, v39
	v_fma_f64 v[44:45], v[91:92], 2.0, -v[10:11]
	v_lshl_add_u32 v112, v4, 3, v60
	s_movk_i32 s2, 0x7fc
	ds_write2_b64 v112, v[42:43], v[14:15] offset1:2
	v_add_f64 v[14:15], v[99:100], -v[46:47]
	v_fma_f64 v[42:43], v[97:98], 2.0, -v[6:7]
	v_lshlrev_b32_e32 v5, 1, v40
	v_and_or_b32 v4, v5, s2, v39
	v_lshl_add_u32 v113, v4, 3, v60
	ds_write2_b64 v113, v[44:45], v[10:11] offset1:2
	v_lshlrev_b32_e32 v4, 1, v28
	v_add_f64 v[10:11], v[77:78], -v[48:49]
	v_and_or_b32 v44, v4, s3, v39
	v_lshl_add_u32 v97, v44, 3, v60
	v_fma_f64 v[44:45], v[99:100], 2.0, -v[14:15]
	ds_write2_b64 v97, v[42:43], v[6:7] offset1:2
	v_add_f64 v[42:43], v[70:71], -v[50:51]
	v_add_f64 v[89:90], v[56:57], -v[54:55]
	v_lshlrev_b32_e32 v6, 1, v115
	v_fma_f64 v[46:47], v[77:78], 2.0, -v[10:11]
	v_and_or_b32 v7, v6, s2, v39
	v_lshl_add_u32 v98, v7, 3, v60
	ds_write2_b64 v98, v[44:45], v[14:15] offset1:2
	v_lshlrev_b32_e32 v7, 1, v117
	v_fma_f64 v[14:15], v[70:71], 2.0, -v[42:43]
	v_fma_f64 v[69:70], v[56:57], 2.0, -v[89:90]
	v_and_or_b32 v44, v7, s2, v39
	v_lshl_add_u32 v71, v44, 3, v60
	ds_write2_b64 v71, v[46:47], v[10:11] offset1:2
	v_lshlrev_b32_e32 v10, 1, v76
	v_add_f64 v[18:19], v[22:23], -v[18:19]
	v_and_or_b32 v11, v10, s2, v39
	v_add_f64 v[26:27], v[24:25], -v[26:27]
	v_lshl_add_u32 v11, v11, 3, v60
	v_add_f64 v[58:59], v[29:30], -v[58:59]
	ds_write2_b64 v11, v[14:15], v[42:43] offset1:2
	s_waitcnt lgkmcnt(0)
	s_barrier
	ds_read_b64 v[14:15], v108
	ds_read_b64 v[91:92], v12
	ds_read2_b64 v[42:45], v20 offset0:16 offset1:240
	ds_read2_b64 v[46:49], v107 offset0:112 offset1:224
	;; [unrolled: 1-line block ×7, first 2 shown]
	ds_read2_b64 v[80:83], v16 offset1:112
	s_waitcnt lgkmcnt(0)
	s_barrier
	ds_write2_b64 v105, v[69:70], v[89:90] offset1:2
	v_add_f64 v[69:70], v[31:32], -v[85:86]
	v_add_f64 v[84:85], v[35:36], -v[87:88]
	;; [unrolled: 1-line block ×5, first 2 shown]
	v_fma_f64 v[22:23], v[22:23], 2.0, -v[18:19]
	v_fma_f64 v[24:25], v[24:25], 2.0, -v[26:27]
	;; [unrolled: 1-line block ×8, first 2 shown]
	ds_write2_b64 v110, v[22:23], v[18:19] offset1:2
	ds_write2_b64 v111, v[24:25], v[26:27] offset1:2
	;; [unrolled: 1-line block ×8, first 2 shown]
	v_and_b32_e32 v11, 3, v72
	v_lshlrev_b32_e32 v18, 4, v11
	s_waitcnt lgkmcnt(0)
	s_barrier
	global_load_dwordx4 v[22:25], v18, s[8:9] offset:32
	ds_read2_b64 v[29:32], v17 offset0:96 offset1:208
	ds_read2_b64 v[33:36], v21 offset0:64 offset1:176
	;; [unrolled: 1-line block ×3, first 2 shown]
	s_movk_i32 s2, 0xf8
	v_and_or_b32 v39, v0, s2, v11
	v_lshl_add_u32 v39, v39, 3, v60
	s_movk_i32 s2, 0x1f8
	s_movk_i32 s3, 0x5f8
	s_waitcnt vmcnt(0) lgkmcnt(2)
	v_mul_f64 v[18:19], v[29:30], v[24:25]
	v_mul_f64 v[26:27], v[31:32], v[24:25]
	;; [unrolled: 1-line block ×3, first 2 shown]
	s_waitcnt lgkmcnt(1)
	v_mul_f64 v[69:70], v[35:36], v[24:25]
	v_mul_f64 v[88:89], v[61:62], v[24:25]
	s_waitcnt lgkmcnt(0)
	v_mul_f64 v[99:100], v[86:87], v[24:25]
	v_mul_f64 v[58:59], v[52:53], v[24:25]
	;; [unrolled: 1-line block ×3, first 2 shown]
	v_fma_f64 v[18:19], v[50:51], v[22:23], v[18:19]
	v_fma_f64 v[26:27], v[52:53], v[22:23], v[26:27]
	v_fma_f64 v[37:38], v[29:30], v[22:23], -v[37:38]
	v_mul_f64 v[29:30], v[33:34], v[24:25]
	ds_read2_b64 v[50:53], v109 offset0:32 offset1:144
	v_fma_f64 v[63:64], v[63:64], v[22:23], v[69:70]
	v_fma_f64 v[69:70], v[33:34], v[22:23], -v[88:89]
	v_fma_f64 v[33:34], v[44:45], v[22:23], v[99:100]
	v_fma_f64 v[58:59], v[31:32], v[22:23], -v[58:59]
	s_waitcnt lgkmcnt(0)
	v_mul_f64 v[95:96], v[50:51], v[24:25]
	v_mul_f64 v[97:98], v[52:53], v[24:25]
	v_fma_f64 v[61:62], v[61:62], v[22:23], v[29:30]
	ds_read2_b64 v[29:32], v16 offset1:112
	v_fma_f64 v[88:89], v[35:36], v[22:23], -v[93:94]
	v_mul_f64 v[35:36], v[76:77], v[24:25]
	v_mul_f64 v[99:100], v[80:81], v[24:25]
	;; [unrolled: 1-line block ×3, first 2 shown]
	v_fma_f64 v[93:94], v[76:77], v[22:23], v[95:96]
	v_fma_f64 v[95:96], v[78:79], v[22:23], v[97:98]
	v_mul_f64 v[76:77], v[78:79], v[24:25]
	s_waitcnt lgkmcnt(0)
	v_mul_f64 v[78:79], v[29:30], v[24:25]
	v_mul_f64 v[97:98], v[31:32], v[24:25]
	;; [unrolled: 1-line block ×3, first 2 shown]
	v_add_f64 v[44:45], v[14:15], -v[33:34]
	v_add_f64 v[18:19], v[46:47], -v[18:19]
	v_add_f64 v[26:27], v[48:49], -v[26:27]
	v_fma_f64 v[103:104], v[50:51], v[22:23], -v[35:36]
	v_fma_f64 v[110:111], v[52:53], v[22:23], -v[76:77]
	v_fma_f64 v[50:51], v[80:81], v[22:23], v[78:79]
	v_fma_f64 v[52:53], v[82:83], v[22:23], v[97:98]
	v_fma_f64 v[97:98], v[29:30], v[22:23], -v[99:100]
	v_fma_f64 v[14:15], v[14:15], 2.0, -v[44:45]
	v_fma_f64 v[99:100], v[31:32], v[22:23], -v[101:102]
	v_fma_f64 v[76:77], v[86:87], v[22:23], -v[24:25]
	ds_read_b64 v[78:79], v108
	ds_read_b64 v[86:87], v12
	ds_read2_b64 v[22:25], v107 offset0:112 offset1:224
	ds_read2_b64 v[29:32], v9 offset0:80 offset1:192
	;; [unrolled: 1-line block ×3, first 2 shown]
	s_waitcnt lgkmcnt(0)
	s_barrier
	v_fma_f64 v[46:47], v[46:47], 2.0, -v[18:19]
	ds_write2_b64 v39, v[14:15], v[44:45] offset1:4
	v_add_f64 v[14:15], v[54:55], -v[61:62]
	v_and_or_b32 v61, v1, s2, v11
	v_fma_f64 v[44:45], v[48:49], 2.0, -v[26:27]
	v_lshl_add_u32 v71, v61, 3, v60
	s_movk_i32 s2, 0x3f8
	v_and_or_b32 v48, v2, s2, v11
	ds_write2_b64 v71, v[46:47], v[18:19] offset1:4
	v_add_f64 v[18:19], v[56:57], -v[63:64]
	v_fma_f64 v[46:47], v[54:55], 2.0, -v[14:15]
	v_lshl_add_u32 v101, v48, 3, v60
	ds_write2_b64 v101, v[44:45], v[26:27] offset1:4
	v_and_or_b32 v44, v3, s2, v11
	v_add_f64 v[26:27], v[65:66], -v[93:94]
	v_lshl_add_u32 v102, v44, 3, v60
	s_movk_i32 s2, 0x7f8
	v_fma_f64 v[44:45], v[56:57], 2.0, -v[18:19]
	ds_write2_b64 v102, v[46:47], v[14:15] offset1:4
	v_add_f64 v[14:15], v[67:68], -v[95:96]
	v_and_or_b32 v46, v5, s2, v11
	v_lshl_add_u32 v96, v46, 3, v60
	v_fma_f64 v[46:47], v[65:66], 2.0, -v[26:27]
	v_add_f64 v[48:49], v[42:43], -v[50:51]
	v_add_f64 v[93:94], v[78:79], -v[76:77]
	ds_write2_b64 v96, v[44:45], v[18:19] offset1:4
	v_add_f64 v[18:19], v[91:92], -v[52:53]
	v_fma_f64 v[44:45], v[67:68], 2.0, -v[14:15]
	v_and_or_b32 v50, v4, s3, v11
	v_lshl_add_u32 v105, v50, 3, v60
	ds_write2_b64 v105, v[46:47], v[26:27] offset1:4
	v_fma_f64 v[26:27], v[42:43], 2.0, -v[48:49]
	v_and_or_b32 v42, v6, s2, v11
	v_lshl_add_u32 v112, v42, 3, v60
	v_fma_f64 v[42:43], v[91:92], 2.0, -v[18:19]
	ds_write2_b64 v112, v[44:45], v[14:15] offset1:4
	v_and_or_b32 v14, v7, s2, v11
	v_lshl_add_u32 v113, v14, 3, v60
	v_fma_f64 v[14:15], v[78:79], 2.0, -v[93:94]
	v_and_or_b32 v11, v10, s2, v11
	v_lshl_add_u32 v11, v11, 3, v60
	ds_write2_b64 v113, v[26:27], v[48:49] offset1:4
	ds_write2_b64 v11, v[42:43], v[18:19] offset1:4
	s_waitcnt lgkmcnt(0)
	s_barrier
	ds_read_b64 v[18:19], v108
	ds_read_b64 v[26:27], v12
	ds_read2_b64 v[42:45], v20 offset0:16 offset1:240
	ds_read2_b64 v[46:49], v107 offset0:112 offset1:224
	;; [unrolled: 1-line block ×7, first 2 shown]
	ds_read2_b64 v[80:83], v16 offset1:112
	s_waitcnt lgkmcnt(0)
	s_barrier
	ds_write2_b64 v39, v[14:15], v[93:94] offset1:4
	v_add_f64 v[14:15], v[22:23], -v[37:38]
	v_add_f64 v[37:38], v[24:25], -v[58:59]
	;; [unrolled: 1-line block ×8, first 2 shown]
	v_fma_f64 v[22:23], v[22:23], 2.0, -v[14:15]
	v_fma_f64 v[24:25], v[24:25], 2.0, -v[37:38]
	;; [unrolled: 1-line block ×8, first 2 shown]
	ds_write2_b64 v71, v[22:23], v[14:15] offset1:4
	ds_write2_b64 v101, v[24:25], v[37:38] offset1:4
	ds_write2_b64 v102, v[29:30], v[58:59] offset1:4
	ds_write2_b64 v96, v[31:32], v[69:70] offset1:4
	ds_write2_b64 v105, v[33:34], v[88:89] offset1:4
	ds_write2_b64 v112, v[35:36], v[90:91] offset1:4
	ds_write2_b64 v113, v[84:85], v[92:93] offset1:4
	ds_write2_b64 v11, v[86:87], v[94:95] offset1:4
	v_and_b32_e32 v11, 7, v72
	v_lshlrev_b32_e32 v14, 4, v11
	s_waitcnt lgkmcnt(0)
	s_barrier
	global_load_dwordx4 v[22:25], v14, s[8:9] offset:96
	ds_read2_b64 v[29:32], v17 offset0:96 offset1:208
	ds_read2_b64 v[33:36], v21 offset0:64 offset1:176
	;; [unrolled: 1-line block ×3, first 2 shown]
	s_movk_i32 s2, 0xf0
	v_and_or_b32 v39, v0, s2, v11
	v_lshl_add_u32 v39, v39, 3, v60
	s_movk_i32 s2, 0x1f0
	s_movk_i32 s3, 0x5f0
	s_waitcnt vmcnt(0) lgkmcnt(2)
	v_mul_f64 v[14:15], v[29:30], v[24:25]
	v_mul_f64 v[37:38], v[31:32], v[24:25]
	;; [unrolled: 1-line block ×3, first 2 shown]
	s_waitcnt lgkmcnt(1)
	v_mul_f64 v[88:89], v[35:36], v[24:25]
	v_mul_f64 v[90:91], v[61:62], v[24:25]
	s_waitcnt lgkmcnt(0)
	v_mul_f64 v[98:99], v[86:87], v[24:25]
	v_mul_f64 v[69:70], v[52:53], v[24:25]
	;; [unrolled: 1-line block ×3, first 2 shown]
	v_fma_f64 v[14:15], v[50:51], v[22:23], v[14:15]
	v_fma_f64 v[37:38], v[52:53], v[22:23], v[37:38]
	v_fma_f64 v[58:59], v[29:30], v[22:23], -v[58:59]
	v_mul_f64 v[29:30], v[33:34], v[24:25]
	ds_read2_b64 v[50:53], v109 offset0:32 offset1:144
	v_fma_f64 v[63:64], v[63:64], v[22:23], v[88:89]
	v_fma_f64 v[88:89], v[33:34], v[22:23], -v[90:91]
	v_fma_f64 v[33:34], v[44:45], v[22:23], v[98:99]
	v_fma_f64 v[69:70], v[31:32], v[22:23], -v[69:70]
	s_waitcnt lgkmcnt(0)
	v_mul_f64 v[94:95], v[50:51], v[24:25]
	v_mul_f64 v[96:97], v[52:53], v[24:25]
	v_fma_f64 v[61:62], v[61:62], v[22:23], v[29:30]
	ds_read2_b64 v[29:32], v16 offset1:112
	v_fma_f64 v[90:91], v[35:36], v[22:23], -v[92:93]
	v_mul_f64 v[35:36], v[76:77], v[24:25]
	v_mul_f64 v[98:99], v[80:81], v[24:25]
	;; [unrolled: 1-line block ×3, first 2 shown]
	v_fma_f64 v[92:93], v[76:77], v[22:23], v[94:95]
	v_fma_f64 v[94:95], v[78:79], v[22:23], v[96:97]
	v_mul_f64 v[76:77], v[78:79], v[24:25]
	s_waitcnt lgkmcnt(0)
	v_mul_f64 v[78:79], v[29:30], v[24:25]
	v_mul_f64 v[96:97], v[31:32], v[24:25]
	;; [unrolled: 1-line block ×3, first 2 shown]
	v_add_f64 v[44:45], v[18:19], -v[33:34]
	v_add_f64 v[14:15], v[46:47], -v[14:15]
	;; [unrolled: 1-line block ×3, first 2 shown]
	v_fma_f64 v[102:103], v[50:51], v[22:23], -v[35:36]
	v_fma_f64 v[104:105], v[52:53], v[22:23], -v[76:77]
	v_fma_f64 v[50:51], v[80:81], v[22:23], v[78:79]
	v_fma_f64 v[52:53], v[82:83], v[22:23], v[96:97]
	v_fma_f64 v[96:97], v[29:30], v[22:23], -v[98:99]
	v_fma_f64 v[18:19], v[18:19], 2.0, -v[44:45]
	v_fma_f64 v[98:99], v[31:32], v[22:23], -v[100:101]
	v_fma_f64 v[76:77], v[86:87], v[22:23], -v[24:25]
	ds_read_b64 v[78:79], v108
	ds_read_b64 v[86:87], v12
	ds_read2_b64 v[22:25], v107 offset0:112 offset1:224
	ds_read2_b64 v[29:32], v9 offset0:80 offset1:192
	;; [unrolled: 1-line block ×3, first 2 shown]
	s_waitcnt lgkmcnt(0)
	s_barrier
	v_fma_f64 v[46:47], v[46:47], 2.0, -v[14:15]
	ds_write2_b64 v39, v[18:19], v[44:45] offset1:8
	v_add_f64 v[18:19], v[54:55], -v[61:62]
	v_and_or_b32 v61, v1, s2, v11
	v_fma_f64 v[44:45], v[48:49], 2.0, -v[37:38]
	v_lshl_add_u32 v71, v61, 3, v60
	s_movk_i32 s2, 0x3f0
	v_and_or_b32 v48, v2, s2, v11
	ds_write2_b64 v71, v[46:47], v[14:15] offset1:8
	v_add_f64 v[14:15], v[56:57], -v[63:64]
	v_fma_f64 v[46:47], v[54:55], 2.0, -v[18:19]
	v_lshl_add_u32 v100, v48, 3, v60
	ds_write2_b64 v100, v[44:45], v[37:38] offset1:8
	v_and_or_b32 v44, v3, s2, v11
	v_add_f64 v[37:38], v[65:66], -v[92:93]
	v_lshl_add_u32 v101, v44, 3, v60
	s_movk_i32 s2, 0x7f0
	v_fma_f64 v[44:45], v[56:57], 2.0, -v[14:15]
	ds_write2_b64 v101, v[46:47], v[18:19] offset1:8
	v_add_f64 v[18:19], v[67:68], -v[94:95]
	v_and_or_b32 v46, v5, s2, v11
	v_lshl_add_u32 v110, v46, 3, v60
	v_fma_f64 v[46:47], v[65:66], 2.0, -v[37:38]
	v_add_f64 v[48:49], v[42:43], -v[50:51]
	v_add_f64 v[92:93], v[78:79], -v[76:77]
	ds_write2_b64 v110, v[44:45], v[14:15] offset1:8
	v_add_f64 v[14:15], v[26:27], -v[52:53]
	v_fma_f64 v[44:45], v[67:68], 2.0, -v[18:19]
	v_and_or_b32 v50, v4, s3, v11
	v_lshl_add_u32 v111, v50, 3, v60
	ds_write2_b64 v111, v[46:47], v[37:38] offset1:8
	v_fma_f64 v[37:38], v[42:43], 2.0, -v[48:49]
	v_and_or_b32 v42, v6, s2, v11
	v_lshl_add_u32 v112, v42, 3, v60
	v_fma_f64 v[26:27], v[26:27], 2.0, -v[14:15]
	ds_write2_b64 v112, v[44:45], v[18:19] offset1:8
	v_and_or_b32 v18, v7, s2, v11
	v_lshl_add_u32 v113, v18, 3, v60
	v_fma_f64 v[18:19], v[78:79], 2.0, -v[92:93]
	v_and_or_b32 v11, v10, s2, v11
	v_lshl_add_u32 v11, v11, 3, v60
	ds_write2_b64 v113, v[37:38], v[48:49] offset1:8
	ds_write2_b64 v11, v[26:27], v[14:15] offset1:8
	s_waitcnt lgkmcnt(0)
	s_barrier
	ds_read_b64 v[14:15], v108
	ds_read_b64 v[26:27], v12
	ds_read2_b64 v[42:45], v20 offset0:16 offset1:240
	ds_read2_b64 v[46:49], v107 offset0:112 offset1:224
	;; [unrolled: 1-line block ×7, first 2 shown]
	ds_read2_b64 v[80:83], v16 offset1:112
	s_waitcnt lgkmcnt(0)
	s_barrier
	ds_write2_b64 v39, v[18:19], v[92:93] offset1:8
	v_add_f64 v[18:19], v[22:23], -v[58:59]
	v_add_f64 v[37:38], v[24:25], -v[69:70]
	;; [unrolled: 1-line block ×8, first 2 shown]
	v_fma_f64 v[22:23], v[22:23], 2.0, -v[18:19]
	v_fma_f64 v[24:25], v[24:25], 2.0, -v[37:38]
	;; [unrolled: 1-line block ×8, first 2 shown]
	ds_write2_b64 v71, v[22:23], v[18:19] offset1:8
	ds_write2_b64 v100, v[24:25], v[37:38] offset1:8
	;; [unrolled: 1-line block ×8, first 2 shown]
	v_and_b32_e32 v11, 15, v72
	v_lshlrev_b32_e32 v18, 4, v11
	s_waitcnt lgkmcnt(0)
	s_barrier
	global_load_dwordx4 v[22:25], v18, s[8:9] offset:224
	ds_read2_b64 v[29:32], v17 offset0:96 offset1:208
	ds_read2_b64 v[33:36], v21 offset0:64 offset1:176
	;; [unrolled: 1-line block ×3, first 2 shown]
	s_movk_i32 s2, 0xe0
	v_and_or_b32 v0, v0, s2, v11
	v_lshl_add_u32 v39, v0, 3, v60
	s_movk_i32 s2, 0x1e0
	s_movk_i32 s3, 0x5e0
	v_and_b32_e32 v112, 31, v73
	v_and_b32_e32 v113, 31, v72
	s_waitcnt vmcnt(0) lgkmcnt(2)
	v_mul_f64 v[18:19], v[29:30], v[24:25]
	v_mul_f64 v[37:38], v[31:32], v[24:25]
	;; [unrolled: 1-line block ×3, first 2 shown]
	s_waitcnt lgkmcnt(1)
	v_mul_f64 v[88:89], v[35:36], v[24:25]
	v_mul_f64 v[90:91], v[61:62], v[24:25]
	;; [unrolled: 1-line block ×3, first 2 shown]
	s_waitcnt lgkmcnt(0)
	v_mul_f64 v[98:99], v[86:87], v[24:25]
	v_mul_f64 v[69:70], v[52:53], v[24:25]
	v_fma_f64 v[18:19], v[50:51], v[22:23], v[18:19]
	v_fma_f64 v[37:38], v[52:53], v[22:23], v[37:38]
	v_fma_f64 v[58:59], v[29:30], v[22:23], -v[58:59]
	v_mul_f64 v[29:30], v[33:34], v[24:25]
	ds_read2_b64 v[50:53], v109 offset0:32 offset1:144
	v_fma_f64 v[63:64], v[63:64], v[22:23], v[88:89]
	v_fma_f64 v[88:89], v[33:34], v[22:23], -v[90:91]
	v_fma_f64 v[90:91], v[35:36], v[22:23], -v[92:93]
	v_fma_f64 v[35:36], v[44:45], v[22:23], v[98:99]
	s_waitcnt lgkmcnt(0)
	v_mul_f64 v[94:95], v[50:51], v[24:25]
	v_mul_f64 v[96:97], v[52:53], v[24:25]
	v_fma_f64 v[69:70], v[31:32], v[22:23], -v[69:70]
	v_fma_f64 v[61:62], v[61:62], v[22:23], v[29:30]
	ds_read2_b64 v[29:32], v16 offset1:112
	v_mul_f64 v[33:34], v[76:77], v[24:25]
	v_mul_f64 v[98:99], v[80:81], v[24:25]
	;; [unrolled: 1-line block ×3, first 2 shown]
	v_fma_f64 v[92:93], v[76:77], v[22:23], v[94:95]
	v_fma_f64 v[94:95], v[78:79], v[22:23], v[96:97]
	v_mul_f64 v[76:77], v[78:79], v[24:25]
	s_waitcnt lgkmcnt(0)
	v_mul_f64 v[78:79], v[29:30], v[24:25]
	v_mul_f64 v[96:97], v[31:32], v[24:25]
	;; [unrolled: 1-line block ×3, first 2 shown]
	v_add_f64 v[44:45], v[14:15], -v[35:36]
	v_add_f64 v[18:19], v[46:47], -v[18:19]
	;; [unrolled: 1-line block ×3, first 2 shown]
	v_fma_f64 v[102:103], v[50:51], v[22:23], -v[33:34]
	v_fma_f64 v[76:77], v[52:53], v[22:23], -v[76:77]
	v_fma_f64 v[50:51], v[80:81], v[22:23], v[78:79]
	v_fma_f64 v[52:53], v[82:83], v[22:23], v[96:97]
	v_fma_f64 v[78:79], v[29:30], v[22:23], -v[98:99]
	v_fma_f64 v[14:15], v[14:15], 2.0, -v[44:45]
	v_fma_f64 v[80:81], v[31:32], v[22:23], -v[100:101]
	v_fma_f64 v[82:83], v[86:87], v[22:23], -v[24:25]
	ds_read_b64 v[86:87], v108
	ds_read_b64 v[96:97], v12
	ds_read2_b64 v[22:25], v107 offset0:112 offset1:224
	ds_read2_b64 v[29:32], v9 offset0:80 offset1:192
	;; [unrolled: 1-line block ×3, first 2 shown]
	s_waitcnt lgkmcnt(0)
	s_barrier
	v_fma_f64 v[46:47], v[46:47], 2.0, -v[18:19]
	ds_write2_b64 v39, v[14:15], v[44:45] offset1:16
	v_add_f64 v[14:15], v[54:55], -v[61:62]
	v_and_or_b32 v44, v1, s2, v11
	v_fma_f64 v[0:1], v[48:49], 2.0, -v[37:38]
	v_lshl_add_u32 v71, v44, 3, v60
	v_add_f64 v[44:45], v[56:57], -v[63:64]
	s_movk_i32 s2, 0x3e0
	ds_write2_b64 v71, v[46:47], v[18:19] offset1:16
	v_and_or_b32 v2, v2, s2, v11
	v_fma_f64 v[18:19], v[54:55], 2.0, -v[14:15]
	v_lshl_add_u32 v98, v2, 3, v60
	ds_write2_b64 v98, v[0:1], v[37:38] offset1:16
	v_and_or_b32 v37, v3, s2, v11
	v_fma_f64 v[0:1], v[56:57], 2.0, -v[44:45]
	v_add_f64 v[2:3], v[65:66], -v[92:93]
	v_lshl_add_u32 v92, v37, 3, v60
	s_movk_i32 s2, 0x7e0
	ds_write2_b64 v92, v[18:19], v[14:15] offset1:16
	v_and_or_b32 v5, v5, s2, v11
	v_add_f64 v[14:15], v[67:68], -v[94:95]
	v_lshl_add_u32 v93, v5, 3, v60
	ds_write2_b64 v93, v[0:1], v[44:45] offset1:16
	v_fma_f64 v[0:1], v[65:66], 2.0, -v[2:3]
	v_add_f64 v[18:19], v[42:43], -v[50:51]
	v_add_f64 v[37:38], v[86:87], -v[82:83]
	;; [unrolled: 1-line block ×3, first 2 shown]
	v_and_or_b32 v46, v4, s3, v11
	v_fma_f64 v[4:5], v[67:68], 2.0, -v[14:15]
	v_lshl_add_u32 v94, v46, 3, v60
	v_and_or_b32 v6, v6, s2, v11
	ds_write2_b64 v94, v[0:1], v[2:3] offset1:16
	v_fma_f64 v[0:1], v[42:43], 2.0, -v[18:19]
	v_fma_f64 v[82:83], v[86:87], 2.0, -v[37:38]
	v_fma_f64 v[2:3], v[26:27], 2.0, -v[44:45]
	v_lshl_add_u32 v86, v6, 3, v60
	ds_write2_b64 v86, v[4:5], v[14:15] offset1:16
	v_and_or_b32 v4, v7, s2, v11
	v_lshl_add_u32 v87, v4, 3, v60
	v_add_f64 v[26:27], v[24:25], -v[69:70]
	ds_write2_b64 v87, v[0:1], v[18:19] offset1:16
	v_and_or_b32 v0, v10, s2, v11
	v_add_f64 v[18:19], v[22:23], -v[58:59]
	v_lshl_add_u32 v95, v0, 3, v60
	ds_write2_b64 v95, v[2:3], v[44:45] offset1:16
	s_waitcnt lgkmcnt(0)
	s_barrier
	ds_read2_b64 v[0:3], v13 offset0:48 offset1:160
	ds_read2_b64 v[4:7], v21 offset0:64 offset1:176
	;; [unrolled: 1-line block ×3, first 2 shown]
	ds_read_b64 v[10:11], v108
	ds_read_b64 v[14:15], v12
	ds_read2_b64 v[46:49], v20 offset0:16 offset1:240
	ds_read2_b64 v[50:53], v109 offset0:32 offset1:144
	;; [unrolled: 1-line block ×4, first 2 shown]
	ds_read2_b64 v[65:68], v16 offset1:112
	s_waitcnt lgkmcnt(0)
	s_barrier
	ds_write2_b64 v39, v[82:83], v[37:38] offset1:16
	v_add_f64 v[37:38], v[29:30], -v[88:89]
	v_add_f64 v[58:59], v[31:32], -v[90:91]
	v_add_f64 v[69:70], v[33:34], -v[102:103]
	v_add_f64 v[76:77], v[35:36], -v[76:77]
	v_add_f64 v[78:79], v[84:85], -v[78:79]
	v_add_f64 v[80:81], v[96:97], -v[80:81]
	v_fma_f64 v[22:23], v[22:23], 2.0, -v[18:19]
	v_fma_f64 v[24:25], v[24:25], 2.0, -v[26:27]
	;; [unrolled: 1-line block ×8, first 2 shown]
	v_and_b32_e32 v39, 31, v28
	ds_write2_b64 v71, v[22:23], v[18:19] offset1:16
	ds_write2_b64 v98, v[24:25], v[26:27] offset1:16
	;; [unrolled: 1-line block ×8, first 2 shown]
	v_lshlrev_b32_e32 v26, 5, v39
	v_and_b32_e32 v71, 31, v41
	s_waitcnt lgkmcnt(0)
	s_barrier
	v_lshlrev_b32_e32 v27, 5, v71
	global_load_dwordx4 v[22:25], v26, s[8:9] offset:480
	global_load_dwordx4 v[29:32], v27, s[8:9] offset:480
	v_lshlrev_b32_e32 v37, 5, v112
	global_load_dwordx2 v[18:19], v37, s[8:9] offset:480
	global_load_dwordx4 v[33:36], v27, s[8:9] offset:496
	v_lshlrev_b32_e32 v27, 5, v113
	global_load_dwordx4 v[76:79], v27, s[8:9] offset:496
	global_load_dwordx2 v[37:38], v26, s[8:9] offset:504
	global_load_dwordx4 v[80:83], v26, s[8:9] offset:496
	global_load_dwordx4 v[84:87], v26, s[8:9] offset:488
	;; [unrolled: 1-line block ×3, first 2 shown]
	ds_read2_b64 v[92:95], v20 offset0:16 offset1:240
	ds_read2_b64 v[96:99], v109 offset0:32 offset1:144
	s_movk_i32 s2, 0x60
	v_cmp_gt_u32_e32 vcc, s2, v72
	s_movk_i32 s2, 0xab
	s_waitcnt vmcnt(8) lgkmcnt(1)
	v_mul_f64 v[26:27], v[92:93], v[24:25]
	s_waitcnt vmcnt(7)
	v_mul_f64 v[58:59], v[94:95], v[31:32]
	v_mul_f64 v[31:32], v[48:49], v[31:32]
	s_waitcnt vmcnt(4)
	v_mul_f64 v[110:111], v[4:5], v[78:79]
	v_mul_f64 v[102:103], v[50:51], v[78:79]
	v_fma_f64 v[69:70], v[46:47], v[18:19], v[26:27]
	v_mul_f64 v[46:47], v[46:47], v[24:25]
	ds_read2_b64 v[24:27], v21 offset0:64 offset1:176
	v_fma_f64 v[100:101], v[48:49], v[29:30], v[58:59]
	s_waitcnt lgkmcnt(1)
	v_mul_f64 v[48:49], v[98:99], v[35:36]
	v_mul_f64 v[35:36], v[52:53], v[35:36]
	v_fma_f64 v[58:59], v[94:95], v[29:30], -v[31:32]
	v_mul_f64 v[94:95], v[96:97], v[78:79]
	s_waitcnt lgkmcnt(0)
	v_mul_f64 v[104:105], v[24:25], v[78:79]
	ds_read2_b64 v[29:32], v16 offset1:112
	v_fma_f64 v[18:19], v[92:93], v[18:19], -v[46:47]
	v_fma_f64 v[96:97], v[96:97], v[76:77], -v[102:103]
	v_fma_f64 v[92:93], v[52:53], v[33:34], v[48:49]
	v_fma_f64 v[98:99], v[98:99], v[33:34], -v[35:36]
	ds_read2_b64 v[33:36], v17 offset0:96 offset1:208
	ds_read2_b64 v[46:49], v13 offset0:48 offset1:160
	v_fma_f64 v[94:95], v[50:51], v[76:77], v[94:95]
	v_fma_f64 v[50:51], v[4:5], v[76:77], v[104:105]
	s_waitcnt lgkmcnt(2)
	v_mul_f64 v[4:5], v[29:30], v[78:79]
	v_fma_f64 v[52:53], v[24:25], v[76:77], -v[110:111]
	v_mul_f64 v[24:25], v[65:66], v[78:79]
	s_waitcnt vmcnt(0) lgkmcnt(0)
	v_mul_f64 v[104:105], v[48:49], v[90:91]
	v_mul_f64 v[78:79], v[31:32], v[37:38]
	;; [unrolled: 1-line block ×5, first 2 shown]
	v_fma_f64 v[65:66], v[65:66], v[76:77], v[4:5]
	v_mul_f64 v[4:5], v[35:36], v[84:85]
	v_fma_f64 v[76:77], v[29:30], v[76:77], -v[24:25]
	v_fma_f64 v[29:30], v[2:3], v[88:89], v[104:105]
	v_mul_f64 v[2:3], v[2:3], v[90:91]
	v_fma_f64 v[67:68], v[67:68], v[80:81], v[78:79]
	v_fma_f64 v[78:79], v[6:7], v[86:87], v[102:103]
	v_mul_f64 v[6:7], v[63:64], v[84:85]
	v_fma_f64 v[37:38], v[31:32], v[80:81], -v[37:38]
	v_fma_f64 v[63:64], v[63:64], v[22:23], v[4:5]
	ds_read_b64 v[4:5], v12
	ds_read_b64 v[80:81], v108
	v_fma_f64 v[26:27], v[26:27], v[86:87], -v[82:83]
	v_add_f64 v[86:87], v[29:30], v[50:51]
	v_fma_f64 v[48:49], v[48:49], v[88:89], -v[2:3]
	s_waitcnt lgkmcnt(1)
	v_mul_f64 v[82:83], v[4:5], v[90:91]
	v_mul_f64 v[31:32], v[61:62], v[90:91]
	;; [unrolled: 1-line block ×4, first 2 shown]
	v_add_f64 v[90:91], v[10:11], v[29:30]
	v_fma_f64 v[6:7], v[35:36], v[22:23], -v[6:7]
	v_fma_f64 v[10:11], v[86:87], -0.5, v[10:11]
	v_add_f64 v[104:105], v[29:30], -v[50:51]
	v_fma_f64 v[14:15], v[14:15], v[88:89], v[82:83]
	v_add_f64 v[82:83], v[48:49], -v[52:53]
	v_fma_f64 v[31:32], v[33:34], v[88:89], -v[31:32]
	v_fma_f64 v[33:34], v[4:5], v[88:89], -v[84:85]
	v_add_f64 v[84:85], v[69:70], v[78:79]
	v_fma_f64 v[35:36], v[61:62], v[88:89], v[24:25]
	v_add_f64 v[61:62], v[90:91], v[50:51]
	v_add_f64 v[88:89], v[42:43], v[69:70]
	ds_read2_b64 v[2:5], v107 offset0:112 offset1:224
	ds_read2_b64 v[22:25], v9 offset0:80 offset1:192
	v_fma_f64 v[86:87], v[82:83], s[4:5], v[10:11]
	v_fma_f64 v[10:11], v[82:83], s[6:7], v[10:11]
	v_lshrrev_b32_e32 v82, 5, v72
	v_fma_f64 v[42:43], v[84:85], -0.5, v[42:43]
	v_add_f64 v[84:85], v[18:19], -v[26:27]
	v_mul_u32_u24_e32 v82, 0x60, v82
	v_or_b32_e32 v82, v82, v113
	v_lshl_add_u32 v110, v82, 3, v60
	s_waitcnt lgkmcnt(0)
	s_barrier
	ds_write2_b64 v110, v[61:62], v[86:87] offset1:32
	v_lshrrev_b32_e32 v86, 5, v73
	v_add_f64 v[61:62], v[88:89], v[78:79]
	v_fma_f64 v[82:83], v[84:85], s[4:5], v[42:43]
	ds_write_b64 v110, v[10:11] offset:512
	v_add_f64 v[10:11], v[14:15], v[94:95]
	v_mul_u32_u24_e32 v86, 0x60, v86
	v_or_b32_e32 v86, v86, v112
	v_lshl_add_u32 v111, v86, 3, v60
	v_add_f64 v[86:87], v[18:19], v[26:27]
	v_fma_f64 v[42:43], v[84:85], s[6:7], v[42:43]
	ds_write2_b64 v111, v[61:62], v[82:83] offset1:32
	v_add_f64 v[61:62], v[33:34], v[96:97]
	v_fma_f64 v[10:11], v[10:11], -0.5, v[44:45]
	v_add_f64 v[44:45], v[44:45], v[14:15]
	v_add_f64 v[82:83], v[33:34], -v[96:97]
	v_add_f64 v[18:19], v[2:3], v[18:19]
	v_fma_f64 v[84:85], v[86:87], -0.5, v[2:3]
	v_add_f64 v[2:3], v[100:101], v[92:93]
	v_add_f64 v[33:34], v[4:5], v[33:34]
	v_fma_f64 v[61:62], v[61:62], -0.5, v[4:5]
	ds_write_b64 v111, v[42:43] offset:512
	v_add_f64 v[4:5], v[44:45], v[94:95]
	v_fma_f64 v[42:43], v[82:83], s[4:5], v[10:11]
	v_add_f64 v[44:45], v[54:55], v[100:101]
	v_fma_f64 v[10:11], v[82:83], s[6:7], v[10:11]
	v_fma_f64 v[2:3], v[2:3], -0.5, v[54:55]
	v_add_f64 v[54:55], v[58:59], -v[98:99]
	v_lshrrev_b32_e32 v82, 5, v106
	v_mul_u32_u24_e32 v82, 0x60, v82
	v_or_b32_e32 v82, v82, v113
	v_lshl_add_u32 v112, v82, 3, v60
	ds_write2_b64 v112, v[4:5], v[42:43] offset1:32
	ds_write_b64 v112, v[10:11] offset:512
	v_add_f64 v[4:5], v[44:45], v[92:93]
	v_lshrrev_b32_e32 v44, 5, v41
	v_mul_u32_u24_e32 v44, 0x60, v44
	v_fma_f64 v[10:11], v[54:55], s[4:5], v[2:3]
	v_add_f64 v[42:43], v[35:36], v[65:66]
	v_or_b32_e32 v71, v44, v71
	v_add_f64 v[44:45], v[58:59], v[98:99]
	v_lshl_add_u32 v71, v71, 3, v60
	v_fma_f64 v[2:3], v[54:55], s[6:7], v[2:3]
	v_add_f64 v[82:83], v[31:32], v[76:77]
	v_add_f64 v[86:87], v[22:23], v[58:59]
	ds_write2_b64 v71, v[4:5], v[10:11] offset1:32
	v_fma_f64 v[4:5], v[42:43], -0.5, v[56:57]
	v_add_f64 v[10:11], v[56:57], v[35:36]
	v_fma_f64 v[88:89], v[44:45], -0.5, v[22:23]
	v_add_f64 v[22:23], v[31:32], -v[76:77]
	ds_write_b64 v71, v[2:3] offset:512
	v_lshrrev_b32_e32 v2, 5, v40
	v_fma_f64 v[82:83], v[82:83], -0.5, v[24:25]
	v_add_f64 v[90:91], v[24:25], v[31:32]
	v_add_f64 v[24:25], v[63:64], v[67:68]
	v_mul_u32_u24_e32 v42, 0x60, v2
	v_add_f64 v[2:3], v[10:11], v[65:66]
	v_fma_f64 v[10:11], v[22:23], s[4:5], v[4:5]
	v_add_f64 v[31:32], v[6:7], v[37:38]
	v_or_b32_e32 v42, v42, v113
	v_lshl_add_u32 v113, v42, 3, v60
	v_fma_f64 v[4:5], v[22:23], s[6:7], v[4:5]
	v_fma_f64 v[22:23], v[24:25], -0.5, v[0:1]
	v_add_f64 v[24:25], v[6:7], -v[37:38]
	v_add_f64 v[0:1], v[0:1], v[63:64]
	ds_write2_b64 v113, v[2:3], v[10:11] offset1:32
	v_fma_f64 v[10:11], v[31:32], -0.5, v[46:47]
	v_add_f64 v[46:47], v[46:47], v[6:7]
	v_add_f64 v[6:7], v[48:49], v[52:53]
	ds_write_b64 v113, v[4:5] offset:512
	v_add_f64 v[4:5], v[80:81], v[48:49]
	v_add_f64 v[69:70], v[69:70], -v[78:79]
	v_add_f64 v[0:1], v[0:1], v[67:68]
	v_fma_f64 v[2:3], v[24:25], s[4:5], v[22:23]
	v_fma_f64 v[22:23], v[24:25], s[6:7], v[22:23]
	v_add_f64 v[14:15], v[14:15], -v[94:95]
	v_fma_f64 v[80:81], v[6:7], -0.5, v[80:81]
	v_add_f64 v[18:19], v[18:19], v[26:27]
	v_add_f64 v[102:103], v[4:5], v[52:53]
	v_fma_f64 v[26:27], v[69:70], s[6:7], v[84:85]
	v_fma_f64 v[69:70], v[69:70], s[4:5], v[84:85]
	v_lshrrev_b32_e32 v31, 5, v28
	v_mul_u32_u24_e32 v24, 0x60, v31
	v_or_b32_e32 v24, v24, v39
	v_fma_f64 v[78:79], v[104:105], s[6:7], v[80:81]
	v_fma_f64 v[80:81], v[104:105], s[4:5], v[80:81]
	v_lshl_add_u32 v39, v24, 3, v60
	ds_write2_b64 v39, v[0:1], v[2:3] offset1:32
	ds_write_b64 v39, v[22:23] offset:512
	s_waitcnt lgkmcnt(0)
	s_barrier
	ds_read_b64 v[126:127], v108
	ds_read_b64 v[128:129], v12
	ds_read2_b64 v[0:3], v13 offset0:48 offset1:160
	ds_read2_b64 v[22:25], v21 offset0:64 offset1:176
	;; [unrolled: 1-line block ×7, first 2 shown]
	ds_read2_b64 v[56:59], v16 offset1:112
	s_waitcnt lgkmcnt(0)
	s_barrier
	v_add_f64 v[33:34], v[33:34], v[96:97]
	v_fma_f64 v[84:85], v[14:15], s[6:7], v[61:62]
	ds_write2_b64 v110, v[102:103], v[78:79] offset1:32
	ds_write_b64 v110, v[80:81] offset:512
	v_add_f64 v[78:79], v[100:101], -v[92:93]
	ds_write2_b64 v111, v[18:19], v[26:27] offset1:32
	ds_write_b64 v111, v[69:70] offset:512
	v_add_f64 v[18:19], v[35:36], -v[65:66]
	v_add_f64 v[26:27], v[63:64], -v[67:68]
	v_fma_f64 v[14:15], v[14:15], s[4:5], v[61:62]
	ds_write2_b64 v112, v[33:34], v[84:85] offset1:32
	v_add_f64 v[33:34], v[86:87], v[98:99]
	v_add_f64 v[62:63], v[90:91], v[76:77]
	v_fma_f64 v[35:36], v[78:79], s[6:7], v[88:89]
	v_fma_f64 v[60:61], v[78:79], s[4:5], v[88:89]
	v_fma_f64 v[64:65], v[18:19], s[6:7], v[82:83]
	v_fma_f64 v[18:19], v[18:19], s[4:5], v[82:83]
	v_add_f64 v[37:38], v[46:47], v[37:38]
	v_fma_f64 v[46:47], v[26:27], s[6:7], v[10:11]
	v_fma_f64 v[10:11], v[26:27], s[4:5], v[10:11]
	ds_write_b64 v112, v[14:15] offset:512
	ds_write2_b64 v71, v[33:34], v[35:36] offset1:32
	ds_write_b64 v71, v[60:61] offset:512
	ds_write2_b64 v113, v[62:63], v[64:65] offset1:32
	;; [unrolled: 2-line block ×3, first 2 shown]
	ds_write_b64 v39, v[10:11] offset:512
	v_add_u32_e32 v10, 0xffffffa0, v72
	v_cndmask_b32_e32 v84, v10, v72, vcc
	v_lshlrev_b32_e32 v10, 1, v84
	v_mov_b32_e32 v11, 0
	v_lshlrev_b64 v[10:11], 4, v[10:11]
	v_mov_b32_e32 v14, s9
	v_add_co_u32_e32 v10, vcc, s8, v10
	v_addc_co_u32_e32 v11, vcc, v14, v11, vcc
	s_waitcnt lgkmcnt(0)
	s_barrier
	global_load_dwordx4 v[33:36], v[10:11], off offset:1520
	v_mul_lo_u16_sdwa v14, v73, s2 dst_sel:DWORD dst_unused:UNUSED_PAD src0_sel:BYTE_0 src1_sel:DWORD
	v_lshrrev_b16_e32 v85, 14, v14
	v_mul_lo_u16_e32 v14, 0x60, v85
	v_sub_u16_e32 v130, v73, v14
	v_mov_b32_e32 v14, 5
	v_lshlrev_b32_sdwa v14, v14, v130 dst_sel:DWORD dst_unused:UNUSED_PAD src0_sel:DWORD src1_sel:BYTE_0
	s_mov_b32 s2, 0xaaab
	global_load_dwordx4 v[60:63], v14, s[8:9] offset:1504
	global_load_dwordx4 v[64:67], v14, s[8:9] offset:1520
	v_mul_u32_u24_sdwa v14, v41, s2 dst_sel:DWORD dst_unused:UNUSED_PAD src0_sel:WORD_0 src1_sel:DWORD
	v_lshrrev_b32_e32 v131, 22, v14
	v_mul_lo_u16_e32 v14, 0x60, v131
	v_sub_u16_e32 v132, v41, v14
	v_lshlrev_b32_e32 v14, 5, v132
	global_load_dwordx4 v[80:83], v14, s[8:9] offset:1504
	v_mul_u32_u24_sdwa v15, v106, s2 dst_sel:DWORD dst_unused:UNUSED_PAD src0_sel:WORD_0 src1_sel:DWORD
	v_lshrrev_b32_e32 v133, 22, v15
	v_mul_lo_u16_e32 v15, 0x60, v133
	v_sub_u16_e32 v134, v106, v15
	v_lshlrev_b32_e32 v15, 5, v134
	global_load_dwordx4 v[88:91], v15, s[8:9] offset:1520
	global_load_dwordx4 v[92:95], v14, s[8:9] offset:1520
	v_mul_u32_u24_sdwa v14, v40, s2 dst_sel:DWORD dst_unused:UNUSED_PAD src0_sel:WORD_0 src1_sel:DWORD
	v_mul_u32_u24_sdwa v18, v28, s2 dst_sel:DWORD dst_unused:UNUSED_PAD src0_sel:WORD_0 src1_sel:DWORD
	v_lshrrev_b32_e32 v135, 22, v14
	v_lshrrev_b32_e32 v137, 22, v18
	v_mul_lo_u16_e32 v14, 0x60, v135
	v_mul_lo_u16_e32 v18, 0x60, v137
	v_sub_u16_e32 v136, v40, v14
	v_sub_u16_e32 v138, v28, v18
	v_lshlrev_b32_e32 v14, 5, v136
	v_lshlrev_b32_e32 v18, 5, v138
	global_load_dwordx4 v[96:99], v14, s[8:9] offset:1504
	global_load_dwordx4 v[100:103], v18, s[8:9] offset:1504
	;; [unrolled: 1-line block ×3, first 2 shown]
	global_load_dwordx4 v[114:117], v[10:11], off offset:1504
	global_load_dwordx4 v[118:121], v18, s[8:9] offset:1520
	global_load_dwordx4 v[122:125], v15, s[8:9] offset:1504
	ds_read2_b64 v[37:40], v21 offset0:64 offset1:176
	ds_read2_b64 v[18:21], v20 offset0:16 offset1:240
	s_movk_i32 s2, 0x5f
	v_cmp_lt_u32_e32 vcc, s2, v72
	s_movk_i32 s2, 0x900
	s_waitcnt vmcnt(11) lgkmcnt(1)
	v_mul_f64 v[10:11], v[37:38], v[35:36]
	v_mul_f64 v[14:15], v[22:23], v[35:36]
	s_waitcnt vmcnt(10) lgkmcnt(0)
	v_mul_f64 v[26:27], v[18:19], v[62:63]
	v_fma_f64 v[76:77], v[22:23], v[33:34], v[10:11]
	v_mul_f64 v[10:11], v[29:30], v[62:63]
	s_waitcnt vmcnt(9)
	v_mul_f64 v[35:36], v[24:25], v[66:67]
	v_fma_f64 v[46:47], v[37:38], v[33:34], -v[14:15]
	v_mul_f64 v[22:23], v[39:40], v[66:67]
	s_waitcnt vmcnt(8)
	v_mul_f64 v[14:15], v[20:21], v[82:83]
	v_fma_f64 v[68:69], v[29:30], v[60:61], v[26:27]
	ds_read2_b64 v[26:29], v109 offset0:32 offset1:144
	v_fma_f64 v[86:87], v[18:19], v[60:61], -v[10:11]
	v_fma_f64 v[70:71], v[39:40], v[64:65], -v[35:36]
	s_waitcnt vmcnt(7)
	v_mul_f64 v[18:19], v[42:43], v[90:91]
	ds_read2_b64 v[60:63], v17 offset0:96 offset1:208
	s_waitcnt lgkmcnt(1)
	v_mul_f64 v[10:11], v[26:27], v[90:91]
	v_fma_f64 v[34:35], v[31:32], v[80:81], v[14:15]
	s_waitcnt vmcnt(6)
	v_mul_f64 v[14:15], v[28:29], v[94:95]
	v_mul_f64 v[37:38], v[31:32], v[82:83]
	v_fma_f64 v[78:79], v[24:25], v[64:65], v[22:23]
	v_fma_f64 v[66:67], v[26:27], v[88:89], -v[18:19]
	s_waitcnt vmcnt(4) lgkmcnt(0)
	v_mul_f64 v[18:19], v[62:63], v[102:103]
	v_fma_f64 v[82:83], v[42:43], v[88:89], v[10:11]
	v_mul_f64 v[30:31], v[54:55], v[102:103]
	v_fma_f64 v[42:43], v[44:45], v[92:93], v[14:15]
	ds_read2_b64 v[14:17], v16 offset1:112
	ds_read2_b64 v[24:27], v13 offset0:48 offset1:160
	v_fma_f64 v[36:37], v[20:21], v[80:81], -v[37:38]
	v_mul_f64 v[20:21], v[44:45], v[94:95]
	v_mul_f64 v[10:11], v[52:53], v[98:99]
	v_fma_f64 v[44:45], v[54:55], v[100:101], v[18:19]
	s_waitcnt vmcnt(2) lgkmcnt(0)
	v_mul_f64 v[18:19], v[26:27], v[116:117]
	v_mul_f64 v[22:23], v[60:61], v[98:99]
	ds_read_b64 v[12:13], v12
	s_waitcnt vmcnt(0)
	v_mul_f64 v[32:33], v[128:129], v[124:125]
	v_fma_f64 v[62:63], v[62:63], v[100:101], -v[30:31]
	v_fma_f64 v[38:39], v[28:29], v[92:93], -v[20:21]
	;; [unrolled: 1-line block ×3, first 2 shown]
	v_mul_f64 v[10:11], v[14:15], v[112:113]
	v_fma_f64 v[102:103], v[2:3], v[114:115], v[18:19]
	v_mul_f64 v[2:3], v[2:3], v[116:117]
	v_mul_f64 v[20:21], v[56:57], v[112:113]
	v_fma_f64 v[40:41], v[52:53], v[96:97], v[22:23]
	ds_read_b64 v[96:97], v108
	s_waitcnt lgkmcnt(1)
	v_mul_f64 v[30:31], v[12:13], v[124:125]
	v_fma_f64 v[100:101], v[12:13], v[122:123], -v[32:33]
	v_fma_f64 v[94:95], v[56:57], v[110:111], v[10:11]
	v_add_f64 v[10:11], v[102:103], v[76:77]
	v_fma_f64 v[104:105], v[26:27], v[114:115], -v[2:3]
	v_mov_b32_e32 v12, 0x900
	v_cndmask_b32_e32 v12, 0, v12, vcc
	v_mul_f64 v[28:29], v[58:59], v[120:121]
	v_fma_f64 v[90:91], v[14:15], v[110:111], -v[20:21]
	v_add_f64 v[2:3], v[126:127], v[102:103]
	v_add_u32_e32 v14, 0, v12
	v_fma_f64 v[10:11], v[10:11], -0.5, v[126:127]
	v_add_f64 v[12:13], v[104:105], -v[46:47]
	v_lshlrev_b32_e32 v15, 3, v84
	v_fma_f64 v[98:99], v[128:129], v[122:123], v[30:31]
	v_add3_u32 v110, v14, v15, v8
	v_add_f64 v[14:15], v[68:69], v[78:79]
	v_mul_f64 v[22:23], v[16:17], v[120:121]
	v_fma_f64 v[88:89], v[16:17], v[118:119], -v[28:29]
	v_add_f64 v[2:3], v[2:3], v[76:77]
	v_fma_f64 v[16:17], v[12:13], s[4:5], v[10:11]
	ds_read2_b64 v[26:29], v9 offset0:80 offset1:192
	ds_read2_b64 v[30:33], v107 offset0:112 offset1:224
	v_fma_f64 v[9:10], v[12:13], s[6:7], v[10:11]
	v_add_f64 v[11:12], v[48:49], v[68:69]
	v_fma_f64 v[13:14], v[14:15], -0.5, v[48:49]
	v_add_f64 v[18:19], v[86:87], -v[70:71]
	v_add_f64 v[20:21], v[98:99], v[82:83]
	s_waitcnt lgkmcnt(0)
	s_barrier
	ds_write2_b64 v110, v[2:3], v[16:17] offset1:96
	ds_write_b64 v110, v[9:10] offset:1536
	v_mov_b32_e32 v2, 3
	v_fma_f64 v[92:93], v[58:59], v[118:119], v[22:23]
	v_lshlrev_b32_sdwa v22, v2, v130 dst_sel:DWORD dst_unused:UNUSED_PAD src0_sel:DWORD src1_sel:BYTE_0
	v_add_f64 v[2:3], v[11:12], v[78:79]
	v_fma_f64 v[9:10], v[18:19], s[4:5], v[13:14]
	v_fma_f64 v[11:12], v[18:19], s[6:7], v[13:14]
	v_fma_f64 v[13:14], v[20:21], -0.5, v[50:51]
	v_add_f64 v[15:16], v[50:51], v[98:99]
	v_add_f64 v[17:18], v[100:101], -v[66:67]
	v_mad_u32_u24 v19, v85, s2, 0
	v_add3_u32 v111, v19, v22, v8
	v_add_f64 v[19:20], v[34:35], v[42:43]
	ds_write2_b64 v111, v[2:3], v[9:10] offset1:96
	ds_write_b64 v111, v[11:12] offset:1536
	v_mad_u32_u24 v21, v133, s2, 0
	v_add_u32_e32 v116, 0x200, v107
	v_add_f64 v[2:3], v[15:16], v[82:83]
	v_fma_f64 v[9:10], v[17:18], s[4:5], v[13:14]
	v_fma_f64 v[11:12], v[17:18], s[6:7], v[13:14]
	v_add_f64 v[13:14], v[4:5], v[34:35]
	v_fma_f64 v[4:5], v[19:20], -0.5, v[4:5]
	v_add_f64 v[15:16], v[36:37], -v[38:39]
	v_lshlrev_b32_e32 v17, 3, v134
	v_add3_u32 v112, v21, v17, v8
	v_mad_u32_u24 v17, v131, s2, 0
	ds_write2_b64 v112, v[2:3], v[9:10] offset1:96
	v_add_f64 v[2:3], v[40:41], v[94:95]
	ds_write_b64 v112, v[11:12] offset:1536
	v_add_f64 v[9:10], v[13:14], v[42:43]
	v_fma_f64 v[11:12], v[15:16], s[4:5], v[4:5]
	v_add_f64 v[13:14], v[44:45], v[92:93]
	v_lshlrev_b32_e32 v18, 3, v132
	v_fma_f64 v[4:5], v[15:16], s[6:7], v[4:5]
	v_add_f64 v[15:16], v[64:65], -v[90:91]
	v_fma_f64 v[2:3], v[2:3], -0.5, v[6:7]
	v_add_f64 v[6:7], v[6:7], v[40:41]
	v_add3_u32 v113, v17, v18, v8
	ds_write2_b64 v113, v[9:10], v[11:12] offset1:96
	v_fma_f64 v[9:10], v[13:14], -0.5, v[0:1]
	v_add_f64 v[11:12], v[62:63], -v[88:89]
	v_add_f64 v[0:1], v[0:1], v[44:45]
	ds_write_b64 v113, v[4:5] offset:1536
	v_fma_f64 v[48:49], v[15:16], s[6:7], v[2:3]
	v_add_f64 v[4:5], v[6:7], v[94:95]
	v_fma_f64 v[6:7], v[15:16], s[4:5], v[2:3]
	v_mad_u32_u24 v13, v135, s2, 0
	v_lshlrev_b32_e32 v14, 3, v136
	v_fma_f64 v[50:51], v[11:12], s[4:5], v[9:10]
	v_add_f64 v[54:55], v[0:1], v[92:93]
	v_fma_f64 v[52:53], v[11:12], s[6:7], v[9:10]
	v_add3_u32 v114, v13, v14, v8
	v_mad_u32_u24 v0, v137, s2, 0
	v_lshlrev_b32_e32 v1, 3, v138
	ds_write2_b64 v114, v[4:5], v[6:7] offset1:96
	v_add3_u32 v115, v0, v1, v8
	ds_write_b64 v114, v[48:49] offset:1536
	ds_write2_b64 v115, v[54:55], v[50:51] offset1:96
	ds_write_b64 v115, v[52:53] offset:1536
	s_waitcnt lgkmcnt(0)
	s_barrier
	v_add_u32_e32 v117, 0xc00, v107
	v_add_u32_e32 v118, 0x1400, v107
	;; [unrolled: 1-line block ×4, first 2 shown]
	ds_read_b64 v[80:81], v108
	ds_read_b64 v[84:85], v107 offset:14720
	ds_read2_b64 v[0:3], v116 offset0:48 offset1:224
	ds_read2_b64 v[16:19], v117 offset0:16 offset1:192
	;; [unrolled: 1-line block ×6, first 2 shown]
	v_cmp_gt_u32_e64 s[2:3], 64, v72
                                        ; implicit-def: $vgpr60_vgpr61
                                        ; implicit-def: $vgpr58_vgpr59
                                        ; implicit-def: $vgpr56_vgpr57
	s_and_saveexec_b64 s[10:11], s[2:3]
	s_cbranch_execz .LBB0_15
; %bb.14:
	ds_read_b64 v[48:49], v107 offset:1792
	ds_read_b64 v[54:55], v107 offset:4096
	;; [unrolled: 1-line block ×7, first 2 shown]
.LBB0_15:
	s_or_b64 exec, exec, s[10:11]
	v_add_f64 v[121:122], v[104:105], v[46:47]
	v_add_f64 v[123:124], v[86:87], v[70:71]
	v_add_f64 v[68:69], v[68:69], -v[78:79]
	v_add_f64 v[78:79], v[32:33], v[100:101]
	v_add_f64 v[104:105], v[96:97], v[104:105]
	v_add_f64 v[76:77], v[102:103], -v[76:77]
	v_add_f64 v[86:87], v[30:31], v[86:87]
	v_add_f64 v[102:103], v[100:101], v[66:67]
	v_fma_f64 v[96:97], v[121:122], -0.5, v[96:97]
	v_fma_f64 v[30:31], v[123:124], -0.5, v[30:31]
	v_add_f64 v[82:83], v[98:99], -v[82:83]
	v_add_f64 v[98:99], v[36:37], v[38:39]
	v_add_f64 v[78:79], v[78:79], v[66:67]
	v_add_f64 v[66:67], v[64:65], v[90:91]
	v_add_f64 v[70:71], v[86:87], v[70:71]
	v_fma_f64 v[32:33], v[102:103], -0.5, v[32:33]
	v_fma_f64 v[86:87], v[76:77], s[6:7], v[96:97]
	v_fma_f64 v[76:77], v[76:77], s[4:5], v[96:97]
	;; [unrolled: 1-line block ×4, first 2 shown]
	v_add_f64 v[68:69], v[62:63], v[88:89]
	v_add_f64 v[36:37], v[26:27], v[36:37]
	v_fma_f64 v[26:27], v[98:99], -0.5, v[26:27]
	v_add_f64 v[34:35], v[34:35], -v[42:43]
	v_add_f64 v[42:43], v[28:29], v[64:65]
	v_fma_f64 v[28:29], v[66:67], -0.5, v[28:29]
	v_add_f64 v[40:41], v[40:41], -v[94:95]
	v_add_f64 v[46:47], v[104:105], v[46:47]
	v_add_f64 v[64:65], v[24:25], v[62:63]
	v_fma_f64 v[24:25], v[68:69], -0.5, v[24:25]
	v_add_f64 v[44:45], v[44:45], -v[92:93]
	v_fma_f64 v[100:101], v[82:83], s[6:7], v[32:33]
	v_fma_f64 v[32:33], v[82:83], s[4:5], v[32:33]
	v_add_f64 v[36:37], v[36:37], v[38:39]
	v_fma_f64 v[38:39], v[34:35], s[6:7], v[26:27]
	v_fma_f64 v[26:27], v[34:35], s[4:5], v[26:27]
	v_add_f64 v[34:35], v[42:43], v[90:91]
	;; [unrolled: 3-line block ×3, first 2 shown]
	v_fma_f64 v[68:69], v[44:45], s[6:7], v[24:25]
	v_fma_f64 v[64:65], v[44:45], s[4:5], v[24:25]
	s_waitcnt lgkmcnt(0)
	s_barrier
	ds_write2_b64 v110, v[46:47], v[86:87] offset1:96
	ds_write_b64 v110, v[76:77] offset:1536
	ds_write2_b64 v111, v[70:71], v[96:97] offset1:96
	ds_write_b64 v111, v[30:31] offset:1536
	ds_write2_b64 v112, v[78:79], v[100:101] offset1:96
	ds_write_b64 v112, v[32:33] offset:1536
	ds_write2_b64 v113, v[36:37], v[38:39] offset1:96
	ds_write_b64 v113, v[26:27] offset:1536
	ds_write2_b64 v114, v[34:35], v[42:43] offset1:96
	ds_write_b64 v114, v[62:63] offset:1536
	ds_write2_b64 v115, v[66:67], v[68:69] offset1:96
	ds_write_b64 v115, v[64:65] offset:1536
	s_waitcnt lgkmcnt(0)
	s_barrier
	ds_read2_b64 v[40:43], v116 offset0:48 offset1:224
	ds_read2_b64 v[32:35], v117 offset0:16 offset1:192
	;; [unrolled: 1-line block ×6, first 2 shown]
	ds_read_b64 v[82:83], v108
	ds_read_b64 v[86:87], v107 offset:14720
                                        ; implicit-def: $vgpr78_vgpr79
                                        ; implicit-def: $vgpr76_vgpr77
                                        ; implicit-def: $vgpr70_vgpr71
	s_and_saveexec_b64 s[4:5], s[2:3]
	s_cbranch_execz .LBB0_17
; %bb.16:
	ds_read_b64 v[62:63], v107 offset:1792
	ds_read_b64 v[66:67], v107 offset:4096
	;; [unrolled: 1-line block ×7, first 2 shown]
.LBB0_17:
	s_or_b64 exec, exec, s[4:5]
	s_and_saveexec_b64 s[4:5], s[0:1]
	s_cbranch_execz .LBB0_20
; %bb.18:
	v_mul_u32_u24_e32 v73, 6, v73
	v_lshlrev_b32_e32 v73, 4, v73
	v_mov_b32_e32 v115, s9
	v_add_co_u32_e32 v73, vcc, s8, v73
	s_movk_i32 s26, 0x1220
	v_addc_co_u32_e32 v105, vcc, 0, v115, vcc
	v_add_co_u32_e64 v88, s[0:1], s26, v73
	v_add_co_u32_e32 v100, vcc, 0x11e0, v73
	v_addc_co_u32_e64 v89, s[0:1], 0, v105, s[0:1]
	global_load_dwordx4 v[88:91], v[88:89], off offset:16
	v_addc_co_u32_e32 v101, vcc, 0, v105, vcc
	global_load_dwordx4 v[92:95], v[100:101], off offset:32
	global_load_dwordx4 v[96:99], v[100:101], off offset:16
	v_add_co_u32_e32 v104, vcc, 0x1000, v73
	v_addc_co_u32_e32 v105, vcc, 0, v105, vcc
	global_load_dwordx4 v[100:103], v[100:101], off offset:48
	s_nop 0
	global_load_dwordx4 v[107:110], v[104:105], off offset:480
	global_load_dwordx4 v[111:114], v[104:105], off offset:544
	v_mul_u32_u24_e32 v73, 6, v72
	v_lshlrev_b32_e32 v73, 4, v73
	v_add_co_u32_e32 v73, vcc, s8, v73
	s_movk_i32 s18, 0x11e0
	v_addc_co_u32_e32 v115, vcc, 0, v115, vcc
	v_add_co_u32_e32 v104, vcc, s18, v73
	s_movk_i32 s27, 0x1000
	v_addc_co_u32_e32 v105, vcc, 0, v115, vcc
	v_add_co_u32_e32 v127, vcc, s27, v73
	v_addc_co_u32_e32 v128, vcc, 0, v115, vcc
	v_add_co_u32_e32 v129, vcc, s26, v73
	v_addc_co_u32_e32 v130, vcc, 0, v115, vcc
	global_load_dwordx4 v[115:118], v[104:105], off offset:32
	global_load_dwordx4 v[119:122], v[104:105], off offset:16
	;; [unrolled: 1-line block ×3, first 2 shown]
	s_mov_b32 s10, 0x37e14327
	s_mov_b32 s6, 0x36b3c0b5
	;; [unrolled: 1-line block ×20, first 2 shown]
	v_mov_b32_e32 v73, 0
	s_waitcnt vmcnt(8) lgkmcnt(0)
	v_mul_f64 v[131:132], v[86:87], v[90:91]
	v_mul_f64 v[90:91], v[84:85], v[90:91]
	s_waitcnt vmcnt(7)
	v_mul_f64 v[133:134], v[28:29], v[94:95]
	v_mul_f64 v[94:95], v[4:5], v[94:95]
	s_waitcnt vmcnt(6)
	v_mul_f64 v[135:136], v[24:25], v[98:99]
	v_mul_f64 v[98:99], v[12:13], v[98:99]
	v_fma_f64 v[131:132], v[84:85], v[88:89], v[131:132]
	v_fma_f64 v[143:144], v[86:87], v[88:89], -v[90:91]
	v_fma_f64 v[4:5], v[4:5], v[92:93], v[133:134]
	v_fma_f64 v[28:29], v[28:29], v[92:93], -v[94:95]
	global_load_dwordx4 v[84:87], v[127:128], off offset:480
	global_load_dwordx4 v[88:91], v[104:105], off offset:48
	global_load_dwordx4 v[92:95], v[129:130], off offset:16
	s_waitcnt vmcnt(8)
	v_mul_f64 v[137:138], v[36:37], v[102:103]
	v_mul_f64 v[102:103], v[20:21], v[102:103]
	s_waitcnt vmcnt(7)
	v_mul_f64 v[139:140], v[32:33], v[109:110]
	s_waitcnt vmcnt(6)
	v_mul_f64 v[141:142], v[44:45], v[113:114]
	v_mul_f64 v[109:110], v[16:17], v[109:110]
	;; [unrolled: 1-line block ×3, first 2 shown]
	v_fma_f64 v[12:13], v[12:13], v[96:97], v[135:136]
	v_fma_f64 v[24:25], v[24:25], v[96:97], -v[98:99]
	v_fma_f64 v[20:21], v[20:21], v[100:101], v[137:138]
	v_fma_f64 v[36:37], v[36:37], v[100:101], -v[102:103]
	v_fma_f64 v[16:17], v[16:17], v[107:108], v[139:140]
	v_fma_f64 v[8:9], v[8:9], v[111:112], v[141:142]
	v_fma_f64 v[32:33], v[32:33], v[107:108], -v[109:110]
	v_fma_f64 v[44:45], v[44:45], v[111:112], -v[113:114]
	v_add_f64 v[96:97], v[20:21], -v[4:5]
	v_add_f64 v[98:99], v[36:37], v[28:29]
	v_add_f64 v[100:101], v[16:17], -v[131:132]
	v_add_f64 v[102:103], v[12:13], -v[8:9]
	v_add_f64 v[104:105], v[32:33], v[143:144]
	v_add_f64 v[107:108], v[24:25], v[44:45]
	;; [unrolled: 1-line block ×5, first 2 shown]
	v_add_f64 v[12:13], v[36:37], -v[28:29]
	v_add_f64 v[20:21], v[32:33], -v[143:144]
	;; [unrolled: 1-line block ×4, first 2 shown]
	v_add_f64 v[32:33], v[104:105], v[107:108]
	v_add_f64 v[36:37], v[96:97], -v[102:103]
	v_add_f64 v[44:45], v[16:17], v[8:9]
	v_add_f64 v[96:97], v[96:97], v[102:103]
	v_add_f64 v[109:110], v[104:105], -v[98:99]
	v_add_f64 v[111:112], v[98:99], -v[107:108]
	;; [unrolled: 1-line block ×6, first 2 shown]
	v_add_f64 v[127:128], v[12:13], v[24:25]
	v_add_f64 v[129:130], v[20:21], -v[12:13]
	v_add_f64 v[12:13], v[12:13], -v[24:25]
	v_add_f64 v[32:33], v[98:99], v[32:33]
	v_add_f64 v[4:5], v[4:5], v[44:45]
	;; [unrolled: 1-line block ×3, first 2 shown]
	v_add_f64 v[24:25], v[24:25], -v[20:21]
	v_mul_f64 v[96:97], v[111:112], s[6:7]
	v_mul_f64 v[98:99], v[109:110], s[10:11]
	v_add_f64 v[8:9], v[8:9], -v[16:17]
	v_mul_f64 v[16:17], v[102:103], s[14:15]
	v_mul_f64 v[36:37], v[36:37], s[4:5]
	;; [unrolled: 1-line block ×5, first 2 shown]
	v_fma_f64 v[109:110], v[109:110], s[10:11], v[96:97]
	v_fma_f64 v[111:112], v[104:105], s[18:19], -v[98:99]
	v_fma_f64 v[104:105], v[104:105], s[20:21], -v[96:97]
	;; [unrolled: 1-line block ×3, first 2 shown]
	v_add_f64 v[98:99], v[40:41], v[32:33]
	v_add_f64 v[96:97], v[0:1], v[4:5]
	v_mul_f64 v[0:1], v[107:108], s[10:11]
	v_add_f64 v[20:21], v[20:21], v[127:128]
	v_fma_f64 v[28:29], v[28:29], s[0:1], v[36:37]
	v_fma_f64 v[36:37], v[102:103], s[14:15], -v[36:37]
	v_fma_f64 v[40:41], v[107:108], s[10:11], v[100:101]
	v_fma_f64 v[102:103], v[129:130], s[16:17], -v[113:114]
	v_fma_f64 v[107:108], v[129:130], s[0:1], v[12:13]
	v_fma_f64 v[32:33], v[32:33], s[24:25], v[98:99]
	v_fma_f64 v[4:5], v[4:5], s[24:25], v[96:97]
	v_fma_f64 v[0:1], v[8:9], s[18:19], -v[0:1]
	v_fma_f64 v[8:9], v[8:9], s[20:21], -v[100:101]
	v_fma_f64 v[12:13], v[24:25], s[14:15], -v[12:13]
	v_fma_f64 v[24:25], v[44:45], s[22:23], v[16:17]
	s_waitcnt vmcnt(3)
	v_mul_f64 v[16:17], v[38:39], v[125:126]
	v_fma_f64 v[28:29], v[44:45], s[22:23], v[28:29]
	v_add_f64 v[100:101], v[109:110], v[32:33]
	v_add_f64 v[40:41], v[40:41], v[4:5]
	v_fma_f64 v[107:108], v[20:21], s[22:23], v[107:108]
	v_add_f64 v[109:110], v[111:112], v[32:33]
	v_add_f64 v[0:1], v[0:1], v[4:5]
	;; [unrolled: 1-line block ×3, first 2 shown]
	v_fma_f64 v[102:103], v[20:21], s[22:23], v[102:103]
	v_fma_f64 v[36:37], v[44:45], s[22:23], v[36:37]
	v_mul_f64 v[44:45], v[34:35], v[121:122]
	v_add_f64 v[4:5], v[8:9], v[4:5]
	v_fma_f64 v[20:21], v[20:21], s[22:23], v[12:13]
	s_waitcnt vmcnt(1)
	v_mul_f64 v[8:9], v[30:31], v[90:91]
	s_waitcnt vmcnt(0)
	v_mul_f64 v[12:13], v[10:11], v[94:95]
	v_fma_f64 v[104:105], v[22:23], v[123:124], v[16:17]
	v_mul_f64 v[22:23], v[22:23], v[125:126]
	v_mul_f64 v[16:17], v[2:3], v[86:87]
	;; [unrolled: 1-line block ×4, first 2 shown]
	v_fma_f64 v[44:45], v[18:19], v[119:120], v[44:45]
	v_add_f64 v[18:19], v[28:29], v[100:101]
	v_fma_f64 v[121:122], v[46:47], v[92:93], -v[12:13]
	v_mul_f64 v[12:13], v[46:47], v[94:95]
	v_mul_f64 v[46:47], v[42:43], v[86:87]
	v_fma_f64 v[42:43], v[42:43], v[84:85], -v[16:17]
	v_fma_f64 v[86:87], v[6:7], v[88:89], v[8:9]
	v_fma_f64 v[94:95], v[14:15], v[115:116], v[113:114]
	v_fma_f64 v[38:39], v[38:39], v[123:124], -v[22:23]
	v_fma_f64 v[34:35], v[34:35], v[119:120], -v[111:112]
	v_mul_f64 v[8:9], v[14:15], v[117:118]
	v_mul_f64 v[6:7], v[6:7], v[90:91]
	v_fma_f64 v[2:3], v[2:3], v[84:85], v[46:47]
	v_fma_f64 v[22:23], v[10:11], v[92:93], v[12:13]
	v_add_f64 v[84:85], v[44:45], -v[104:105]
	v_add_f64 v[46:47], v[86:87], -v[94:95]
	v_add_f64 v[90:91], v[42:43], v[121:122]
	v_add_f64 v[92:93], v[34:35], v[38:39]
	v_fma_f64 v[111:112], v[26:27], v[115:116], -v[8:9]
	v_fma_f64 v[6:7], v[30:31], v[88:89], -v[6:7]
	v_add_f64 v[44:45], v[44:45], v[104:105]
	v_add_f64 v[115:116], v[2:3], v[22:23]
	;; [unrolled: 1-line block ×3, first 2 shown]
	v_add_f64 v[26:27], v[46:47], -v[84:85]
	v_add_f64 v[8:9], v[0:1], -v[102:103]
	v_add_f64 v[88:89], v[90:91], v[92:93]
	v_add_f64 v[14:15], v[32:33], -v[36:37]
	v_add_f64 v[113:114], v[6:7], v[111:112]
	v_add_f64 v[30:31], v[2:3], -v[22:23]
	v_add_f64 v[22:23], v[36:37], v[32:33]
	v_add_f64 v[86:87], v[86:87], v[94:95]
	v_mul_f64 v[36:37], v[26:27], s[4:5]
	v_add_f64 v[26:27], v[109:110], -v[24:25]
	v_add_f64 v[24:25], v[102:103], v[0:1]
	v_add_f64 v[0:1], v[115:116], v[44:45]
	;; [unrolled: 1-line block ×4, first 2 shown]
	v_add_f64 v[32:33], v[30:31], -v[46:47]
	v_add_f64 v[20:21], v[4:5], -v[20:21]
	v_add_f64 v[46:47], v[46:47], v[84:85]
	v_add_f64 v[6:7], v[6:7], -v[111:112]
	v_add_f64 v[34:35], v[34:35], -v[38:39]
	v_add_f64 v[0:1], v[86:87], v[0:1]
	v_add_f64 v[4:5], v[82:83], v[2:3]
	v_add_f64 v[82:83], v[113:114], -v[92:93]
	v_add_f64 v[94:95], v[86:87], -v[44:45]
	;; [unrolled: 1-line block ×4, first 2 shown]
	v_add_f64 v[46:47], v[30:31], v[46:47]
	v_add_f64 v[102:103], v[6:7], -v[34:35]
	v_add_f64 v[30:31], v[84:85], -v[30:31]
	v_fma_f64 v[104:105], v[2:3], s[24:25], v[4:5]
	v_mul_f64 v[82:83], v[82:83], s[6:7]
	v_add_f64 v[2:3], v[80:81], v[0:1]
	v_add_f64 v[80:81], v[115:116], -v[86:87]
	v_mul_f64 v[86:87], v[94:95], s[6:7]
	v_add_f64 v[94:95], v[42:43], -v[6:7]
	v_add_f64 v[6:7], v[6:7], v[34:35]
	v_add_f64 v[34:35], v[34:35], -v[42:43]
	v_mul_f64 v[109:110], v[38:39], s[10:11]
	v_mul_f64 v[102:103], v[102:103], s[4:5]
	v_fma_f64 v[38:39], v[38:39], s[10:11], v[82:83]
	v_add_f64 v[90:91], v[92:93], -v[90:91]
	v_fma_f64 v[0:1], v[0:1], s[24:25], v[2:3]
	v_mul_f64 v[84:85], v[80:81], s[10:11]
	v_add_f64 v[6:7], v[42:43], v[6:7]
	v_mul_f64 v[42:43], v[30:31], s[14:15]
	v_fma_f64 v[80:81], v[80:81], s[10:11], v[86:87]
	v_add_f64 v[44:45], v[44:45], -v[115:116]
	v_mul_f64 v[92:93], v[34:35], s[14:15]
	v_fma_f64 v[88:89], v[32:33], s[0:1], v[36:37]
	v_fma_f64 v[111:112], v[94:95], s[0:1], v[102:103]
	v_add_f64 v[113:114], v[38:39], v[104:105]
	v_fma_f64 v[38:39], v[90:91], s[18:19], -v[109:110]
	v_fma_f64 v[32:33], v[32:33], s[16:17], -v[42:43]
	v_add_f64 v[115:116], v[80:81], v[0:1]
	v_fma_f64 v[42:43], v[44:45], s[18:19], -v[84:85]
	v_fma_f64 v[80:81], v[94:95], s[16:17], -v[92:93]
	;; [unrolled: 1-line block ×6, first 2 shown]
	v_fma_f64 v[88:89], v[46:47], s[22:23], v[88:89]
	v_fma_f64 v[111:112], v[6:7], s[22:23], v[111:112]
	;; [unrolled: 1-line block ×3, first 2 shown]
	v_add_f64 v[86:87], v[38:39], v[104:105]
	v_add_f64 v[90:91], v[42:43], v[0:1]
	v_fma_f64 v[80:81], v[6:7], s[22:23], v[80:81]
	v_add_f64 v[44:45], v[82:83], v[104:105]
	v_fma_f64 v[46:47], v[46:47], s[22:23], v[30:31]
	;; [unrolled: 2-line block ×3, first 2 shown]
	v_add_f64 v[16:17], v[40:41], -v[107:108]
	v_add_f64 v[38:39], v[84:85], v[86:87]
	v_add_f64 v[82:83], v[86:87], -v[84:85]
	v_add_f64 v[86:87], v[113:114], -v[88:89]
	v_add_f64 v[84:85], v[111:112], v[115:116]
	v_add_f64 v[30:31], v[100:101], -v[28:29]
	v_add_f64 v[28:29], v[107:108], v[40:41]
	v_add_f64 v[42:43], v[44:45], -v[46:47]
	v_add_f64 v[40:41], v[6:7], v[0:1]
	v_add_f64 v[46:47], v[46:47], v[44:45]
	v_add_f64 v[44:45], v[0:1], -v[6:7]
	v_mov_b32_e32 v0, s13
	v_add_co_u32_e32 v6, vcc, s12, v74
	v_addc_co_u32_e32 v7, vcc, v0, v75, vcc
	v_lshlrev_b64 v[0:1], 4, v[72:73]
	s_movk_i32 s12, 0x2000
	v_add_co_u32_e32 v0, vcc, v6, v0
	v_addc_co_u32_e32 v1, vcc, v7, v1, vcc
	v_add_co_u32_e32 v74, vcc, s27, v0
	v_addc_co_u32_e32 v75, vcc, 0, v1, vcc
	v_add_f64 v[36:37], v[90:91], -v[80:81]
	global_store_dwordx4 v[74:75], v[84:87], off offset:512
	v_add_f64 v[34:35], v[88:89], v[113:114]
	v_add_co_u32_e32 v84, vcc, s12, v0
	v_addc_co_u32_e32 v85, vcc, 0, v1, vcc
	s_movk_i32 s12, 0x3000
	v_add_f64 v[32:33], v[115:116], -v[111:112]
	v_add_f64 v[80:81], v[80:81], v[90:91]
	global_store_dwordx4 v[0:1], v[2:5], off
	global_store_dwordx4 v[84:85], v[80:83], off offset:1024
	v_add_co_u32_e32 v2, vcc, s12, v0
	v_addc_co_u32_e32 v3, vcc, 0, v1, vcc
	s_movk_i32 s12, 0x4000
	global_store_dwordx4 v[2:3], v[44:47], off offset:1536
	s_nop 0
	v_add_co_u32_e32 v44, vcc, s12, v0
	v_addc_co_u32_e32 v45, vcc, 0, v1, vcc
	s_movk_i32 s12, 0x5000
	v_add_co_u32_e32 v4, vcc, s12, v0
	v_addc_co_u32_e32 v5, vcc, 0, v1, vcc
	s_movk_i32 s12, 0x6000
	global_store_dwordx4 v[4:5], v[36:39], off offset:2560
	global_store_dwordx4 v[44:45], v[40:43], off offset:2048
	v_add_co_u32_e32 v36, vcc, s12, v0
	v_addc_co_u32_e32 v37, vcc, 0, v1, vcc
	global_store_dwordx4 v[36:37], v[32:35], off offset:3072
	global_store_dwordx4 v[0:1], v[96:99], off offset:1792
	;; [unrolled: 1-line block ×7, first 2 shown]
	s_nop 0
	v_add_co_u32_e32 v8, vcc, 0x7000, v0
	v_addc_co_u32_e32 v9, vcc, 0, v1, vcc
	global_store_dwordx4 v[8:9], v[16:19], off offset:768
	s_and_b64 exec, exec, s[2:3]
	s_cbranch_execz .LBB0_20
; %bb.19:
	v_subrev_u32_e32 v8, 64, v72
	v_cndmask_b32_e64 v8, v8, v106, s[2:3]
	v_mul_i32_i24_e32 v8, 6, v8
	v_mov_b32_e32 v9, v73
	v_lshlrev_b64 v[8:9], 4, v[8:9]
	v_mov_b32_e32 v10, s9
	v_add_co_u32_e32 v26, vcc, s8, v8
	v_addc_co_u32_e32 v27, vcc, v10, v9, vcc
	v_add_co_u32_e32 v24, vcc, 0x11e0, v26
	v_addc_co_u32_e32 v25, vcc, 0, v27, vcc
	;; [unrolled: 2-line block ×4, first 2 shown]
	global_load_dwordx4 v[8:11], v[24:25], off offset:32
	global_load_dwordx4 v[12:15], v[24:25], off offset:16
	;; [unrolled: 1-line block ×4, first 2 shown]
	s_nop 0
	global_load_dwordx4 v[24:27], v[34:35], off offset:16
	global_load_dwordx4 v[28:31], v[32:33], off offset:544
	v_or_b32_e32 v32, 0x200, v72
	v_mov_b32_e32 v33, v73
	v_lshlrev_b64 v[32:33], 4, v[32:33]
	v_or_b32_e32 v34, 0x440, v72
	v_mov_b32_e32 v35, v73
	v_lshlrev_b64 v[34:35], 4, v[34:35]
	v_add_co_u32_e32 v32, vcc, v6, v32
	v_or_b32_e32 v72, 0x680, v72
	v_addc_co_u32_e32 v33, vcc, v7, v33, vcc
	v_lshlrev_b64 v[36:37], 4, v[72:73]
	v_add_co_u32_e32 v34, vcc, v6, v34
	v_addc_co_u32_e32 v35, vcc, v7, v35, vcc
	v_add_co_u32_e32 v36, vcc, v6, v36
	v_addc_co_u32_e32 v37, vcc, v7, v37, vcc
	s_waitcnt vmcnt(5)
	v_mul_f64 v[38:39], v[64:65], v[10:11]
	s_waitcnt vmcnt(4)
	v_mul_f64 v[6:7], v[68:69], v[14:15]
	v_mul_f64 v[14:15], v[50:51], v[14:15]
	;; [unrolled: 1-line block ×3, first 2 shown]
	s_waitcnt vmcnt(3)
	v_mul_f64 v[40:41], v[66:67], v[18:19]
	v_mul_f64 v[18:19], v[54:55], v[18:19]
	s_waitcnt vmcnt(1)
	v_mul_f64 v[44:45], v[78:79], v[26:27]
	v_mul_f64 v[26:27], v[60:61], v[26:27]
	;; [unrolled: 3-line block ×3, first 2 shown]
	v_mul_f64 v[42:43], v[70:71], v[22:23]
	v_mul_f64 v[22:23], v[56:57], v[22:23]
	v_fma_f64 v[6:7], v[50:51], v[12:13], v[6:7]
	v_fma_f64 v[12:13], v[68:69], v[12:13], -v[14:15]
	v_fma_f64 v[14:15], v[54:55], v[16:17], v[40:41]
	v_fma_f64 v[16:17], v[66:67], v[16:17], -v[18:19]
	;; [unrolled: 2-line block ×6, first 2 shown]
	v_add_f64 v[22:23], v[14:15], v[18:19]
	v_add_f64 v[38:39], v[16:17], v[24:25]
	v_add_f64 v[14:15], v[14:15], -v[18:19]
	v_add_f64 v[16:17], v[16:17], -v[24:25]
	v_add_f64 v[18:19], v[6:7], v[10:11]
	v_add_f64 v[24:25], v[12:13], v[28:29]
	v_add_f64 v[6:7], v[6:7], -v[10:11]
	v_add_f64 v[10:11], v[12:13], -v[28:29]
	;; [unrolled: 4-line block ×4, first 2 shown]
	v_add_f64 v[22:23], v[22:23], -v[12:13]
	v_add_f64 v[38:39], v[38:39], -v[28:29]
	;; [unrolled: 1-line block ×4, first 2 shown]
	v_add_f64 v[44:45], v[26:27], v[6:7]
	v_add_f64 v[46:47], v[8:9], v[10:11]
	v_add_f64 v[50:51], v[26:27], -v[6:7]
	v_add_f64 v[52:53], v[8:9], -v[10:11]
	;; [unrolled: 1-line block ×4, first 2 shown]
	v_add_f64 v[12:13], v[12:13], v[20:21]
	v_add_f64 v[20:21], v[28:29], v[30:31]
	v_add_f64 v[26:27], v[14:15], -v[26:27]
	v_add_f64 v[54:55], v[16:17], -v[8:9]
	v_add_f64 v[14:15], v[44:45], v[14:15]
	v_add_f64 v[16:17], v[46:47], v[16:17]
	v_mul_f64 v[22:23], v[22:23], s[10:11]
	v_mul_f64 v[28:29], v[38:39], s[10:11]
	v_mul_f64 v[30:31], v[18:19], s[6:7]
	v_mul_f64 v[38:39], v[24:25], s[6:7]
	v_mul_f64 v[44:45], v[50:51], s[4:5]
	v_mul_f64 v[46:47], v[52:53], s[4:5]
	v_mul_f64 v[50:51], v[56:57], s[14:15]
	v_mul_f64 v[52:53], v[10:11], s[14:15]
	v_add_f64 v[6:7], v[48:49], v[12:13]
	v_add_f64 v[8:9], v[62:63], v[20:21]
	v_fma_f64 v[18:19], v[18:19], s[6:7], v[22:23]
	v_fma_f64 v[24:25], v[24:25], s[6:7], v[28:29]
	v_fma_f64 v[30:31], v[40:41], s[20:21], -v[30:31]
	v_fma_f64 v[38:39], v[42:43], s[20:21], -v[38:39]
	;; [unrolled: 1-line block ×4, first 2 shown]
	v_fma_f64 v[40:41], v[26:27], s[0:1], v[44:45]
	v_fma_f64 v[42:43], v[54:55], s[0:1], v[46:47]
	v_fma_f64 v[10:11], v[10:11], s[14:15], -v[46:47]
	v_fma_f64 v[26:27], v[26:27], s[16:17], -v[50:51]
	;; [unrolled: 1-line block ×3, first 2 shown]
	v_fma_f64 v[12:13], v[12:13], s[24:25], v[6:7]
	v_fma_f64 v[20:21], v[20:21], s[24:25], v[8:9]
	v_fma_f64 v[44:45], v[56:57], s[14:15], -v[44:45]
	v_fma_f64 v[40:41], v[14:15], s[22:23], v[40:41]
	v_fma_f64 v[42:43], v[16:17], s[22:23], v[42:43]
	;; [unrolled: 1-line block ×5, first 2 shown]
	v_add_f64 v[46:47], v[18:19], v[12:13]
	v_add_f64 v[52:53], v[24:25], v[20:21]
	;; [unrolled: 1-line block ×4, first 2 shown]
	v_fma_f64 v[44:45], v[14:15], s[22:23], v[44:45]
	v_add_f64 v[22:23], v[30:31], v[12:13]
	v_add_f64 v[24:25], v[38:39], v[20:21]
	global_store_dwordx4 v[0:1], v[6:9], off offset:3584
	v_add_f64 v[10:11], v[42:43], v[46:47]
	v_add_f64 v[12:13], v[52:53], -v[40:41]
	v_add_f64 v[6:7], v[46:47], -v[42:43]
	v_add_f64 v[8:9], v[40:41], v[52:53]
	v_add_f64 v[14:15], v[26:27], v[54:55]
	v_add_f64 v[16:17], v[28:29], -v[50:51]
	v_add_f64 v[18:19], v[22:23], -v[48:49]
	v_add_f64 v[20:21], v[44:45], v[24:25]
	;; [unrolled: 4-line block ×3, first 2 shown]
	v_add_co_u32_e32 v30, vcc, 0x7000, v0
	v_addc_co_u32_e32 v31, vcc, 0, v1, vcc
	global_store_dwordx4 v[32:33], v[10:13], off
	global_store_dwordx4 v[2:3], v[14:17], off offset:512
	global_store_dwordx4 v[34:35], v[18:21], off
	global_store_dwordx4 v[4:5], v[22:25], off offset:1536
	;; [unrolled: 2-line block ×3, first 2 shown]
.LBB0_20:
	s_endpgm
	.section	.rodata,"a",@progbits
	.p2align	6, 0x0
	.amdhsa_kernel fft_rtc_back_len2016_factors_2_2_2_2_2_3_3_7_wgs_224_tpt_112_halfLds_dp_ip_CI_unitstride_sbrr_dirReg
		.amdhsa_group_segment_fixed_size 0
		.amdhsa_private_segment_fixed_size 0
		.amdhsa_kernarg_size 88
		.amdhsa_user_sgpr_count 6
		.amdhsa_user_sgpr_private_segment_buffer 1
		.amdhsa_user_sgpr_dispatch_ptr 0
		.amdhsa_user_sgpr_queue_ptr 0
		.amdhsa_user_sgpr_kernarg_segment_ptr 1
		.amdhsa_user_sgpr_dispatch_id 0
		.amdhsa_user_sgpr_flat_scratch_init 0
		.amdhsa_user_sgpr_private_segment_size 0
		.amdhsa_uses_dynamic_stack 0
		.amdhsa_system_sgpr_private_segment_wavefront_offset 0
		.amdhsa_system_sgpr_workgroup_id_x 1
		.amdhsa_system_sgpr_workgroup_id_y 0
		.amdhsa_system_sgpr_workgroup_id_z 0
		.amdhsa_system_sgpr_workgroup_info 0
		.amdhsa_system_vgpr_workitem_id 0
		.amdhsa_next_free_vgpr 145
		.amdhsa_next_free_sgpr 28
		.amdhsa_reserve_vcc 1
		.amdhsa_reserve_flat_scratch 0
		.amdhsa_float_round_mode_32 0
		.amdhsa_float_round_mode_16_64 0
		.amdhsa_float_denorm_mode_32 3
		.amdhsa_float_denorm_mode_16_64 3
		.amdhsa_dx10_clamp 1
		.amdhsa_ieee_mode 1
		.amdhsa_fp16_overflow 0
		.amdhsa_exception_fp_ieee_invalid_op 0
		.amdhsa_exception_fp_denorm_src 0
		.amdhsa_exception_fp_ieee_div_zero 0
		.amdhsa_exception_fp_ieee_overflow 0
		.amdhsa_exception_fp_ieee_underflow 0
		.amdhsa_exception_fp_ieee_inexact 0
		.amdhsa_exception_int_div_zero 0
	.end_amdhsa_kernel
	.text
.Lfunc_end0:
	.size	fft_rtc_back_len2016_factors_2_2_2_2_2_3_3_7_wgs_224_tpt_112_halfLds_dp_ip_CI_unitstride_sbrr_dirReg, .Lfunc_end0-fft_rtc_back_len2016_factors_2_2_2_2_2_3_3_7_wgs_224_tpt_112_halfLds_dp_ip_CI_unitstride_sbrr_dirReg
                                        ; -- End function
	.section	.AMDGPU.csdata,"",@progbits
; Kernel info:
; codeLenInByte = 14096
; NumSgprs: 32
; NumVgprs: 145
; ScratchSize: 0
; MemoryBound: 1
; FloatMode: 240
; IeeeMode: 1
; LDSByteSize: 0 bytes/workgroup (compile time only)
; SGPRBlocks: 3
; VGPRBlocks: 36
; NumSGPRsForWavesPerEU: 32
; NumVGPRsForWavesPerEU: 145
; Occupancy: 1
; WaveLimiterHint : 1
; COMPUTE_PGM_RSRC2:SCRATCH_EN: 0
; COMPUTE_PGM_RSRC2:USER_SGPR: 6
; COMPUTE_PGM_RSRC2:TRAP_HANDLER: 0
; COMPUTE_PGM_RSRC2:TGID_X_EN: 1
; COMPUTE_PGM_RSRC2:TGID_Y_EN: 0
; COMPUTE_PGM_RSRC2:TGID_Z_EN: 0
; COMPUTE_PGM_RSRC2:TIDIG_COMP_CNT: 0
	.type	__hip_cuid_fe2f5b44e1d00722,@object ; @__hip_cuid_fe2f5b44e1d00722
	.section	.bss,"aw",@nobits
	.globl	__hip_cuid_fe2f5b44e1d00722
__hip_cuid_fe2f5b44e1d00722:
	.byte	0                               ; 0x0
	.size	__hip_cuid_fe2f5b44e1d00722, 1

	.ident	"AMD clang version 19.0.0git (https://github.com/RadeonOpenCompute/llvm-project roc-6.4.0 25133 c7fe45cf4b819c5991fe208aaa96edf142730f1d)"
	.section	".note.GNU-stack","",@progbits
	.addrsig
	.addrsig_sym __hip_cuid_fe2f5b44e1d00722
	.amdgpu_metadata
---
amdhsa.kernels:
  - .args:
      - .actual_access:  read_only
        .address_space:  global
        .offset:         0
        .size:           8
        .value_kind:     global_buffer
      - .offset:         8
        .size:           8
        .value_kind:     by_value
      - .actual_access:  read_only
        .address_space:  global
        .offset:         16
        .size:           8
        .value_kind:     global_buffer
      - .actual_access:  read_only
        .address_space:  global
        .offset:         24
        .size:           8
        .value_kind:     global_buffer
      - .offset:         32
        .size:           8
        .value_kind:     by_value
      - .actual_access:  read_only
        .address_space:  global
        .offset:         40
        .size:           8
        .value_kind:     global_buffer
      - .actual_access:  read_only
        .address_space:  global
        .offset:         48
        .size:           8
        .value_kind:     global_buffer
      - .offset:         56
        .size:           4
        .value_kind:     by_value
      - .actual_access:  read_only
        .address_space:  global
        .offset:         64
        .size:           8
        .value_kind:     global_buffer
      - .actual_access:  read_only
        .address_space:  global
        .offset:         72
        .size:           8
        .value_kind:     global_buffer
      - .address_space:  global
        .offset:         80
        .size:           8
        .value_kind:     global_buffer
    .group_segment_fixed_size: 0
    .kernarg_segment_align: 8
    .kernarg_segment_size: 88
    .language:       OpenCL C
    .language_version:
      - 2
      - 0
    .max_flat_workgroup_size: 224
    .name:           fft_rtc_back_len2016_factors_2_2_2_2_2_3_3_7_wgs_224_tpt_112_halfLds_dp_ip_CI_unitstride_sbrr_dirReg
    .private_segment_fixed_size: 0
    .sgpr_count:     32
    .sgpr_spill_count: 0
    .symbol:         fft_rtc_back_len2016_factors_2_2_2_2_2_3_3_7_wgs_224_tpt_112_halfLds_dp_ip_CI_unitstride_sbrr_dirReg.kd
    .uniform_work_group_size: 1
    .uses_dynamic_stack: false
    .vgpr_count:     145
    .vgpr_spill_count: 0
    .wavefront_size: 64
amdhsa.target:   amdgcn-amd-amdhsa--gfx906
amdhsa.version:
  - 1
  - 2
...

	.end_amdgpu_metadata
